;; amdgpu-corpus repo=ROCm/rocFFT kind=compiled arch=gfx1030 opt=O3
	.text
	.amdgcn_target "amdgcn-amd-amdhsa--gfx1030"
	.amdhsa_code_object_version 6
	.protected	fft_rtc_back_len1989_factors_17_13_9_wgs_153_tpt_153_halfLds_sp_ip_CI_sbrr_dirReg ; -- Begin function fft_rtc_back_len1989_factors_17_13_9_wgs_153_tpt_153_halfLds_sp_ip_CI_sbrr_dirReg
	.globl	fft_rtc_back_len1989_factors_17_13_9_wgs_153_tpt_153_halfLds_sp_ip_CI_sbrr_dirReg
	.p2align	8
	.type	fft_rtc_back_len1989_factors_17_13_9_wgs_153_tpt_153_halfLds_sp_ip_CI_sbrr_dirReg,@function
fft_rtc_back_len1989_factors_17_13_9_wgs_153_tpt_153_halfLds_sp_ip_CI_sbrr_dirReg: ; @fft_rtc_back_len1989_factors_17_13_9_wgs_153_tpt_153_halfLds_sp_ip_CI_sbrr_dirReg
; %bb.0:
	s_clause 0x2
	s_load_dwordx2 s[14:15], s[4:5], 0x18
	s_load_dwordx4 s[8:11], s[4:5], 0x0
	s_load_dwordx2 s[12:13], s[4:5], 0x50
	v_mul_u32_u24_e32 v1, 0x1ad, v0
	v_mov_b32_e32 v3, 0
	v_add_nc_u32_sdwa v5, s6, v1 dst_sel:DWORD dst_unused:UNUSED_PAD src0_sel:DWORD src1_sel:WORD_1
	v_mov_b32_e32 v1, 0
	v_mov_b32_e32 v6, v3
	v_mov_b32_e32 v2, 0
	s_waitcnt lgkmcnt(0)
	s_load_dwordx2 s[2:3], s[14:15], 0x0
	v_cmp_lt_u64_e64 s0, s[10:11], 2
	s_and_b32 vcc_lo, exec_lo, s0
	s_cbranch_vccnz .LBB0_8
; %bb.1:
	s_load_dwordx2 s[0:1], s[4:5], 0x10
	v_mov_b32_e32 v1, 0
	s_add_u32 s6, s14, 8
	v_mov_b32_e32 v2, 0
	s_addc_u32 s7, s15, 0
	s_mov_b64 s[18:19], 1
	s_waitcnt lgkmcnt(0)
	s_add_u32 s16, s0, 8
	s_addc_u32 s17, s1, 0
.LBB0_2:                                ; =>This Inner Loop Header: Depth=1
	s_load_dwordx2 s[20:21], s[16:17], 0x0
                                        ; implicit-def: $vgpr7_vgpr8
	s_mov_b32 s0, exec_lo
	s_waitcnt lgkmcnt(0)
	v_or_b32_e32 v4, s21, v6
	v_cmpx_ne_u64_e32 0, v[3:4]
	s_xor_b32 s1, exec_lo, s0
	s_cbranch_execz .LBB0_4
; %bb.3:                                ;   in Loop: Header=BB0_2 Depth=1
	v_cvt_f32_u32_e32 v4, s20
	v_cvt_f32_u32_e32 v7, s21
	s_sub_u32 s0, 0, s20
	s_subb_u32 s22, 0, s21
	v_fmac_f32_e32 v4, 0x4f800000, v7
	v_rcp_f32_e32 v4, v4
	v_mul_f32_e32 v4, 0x5f7ffffc, v4
	v_mul_f32_e32 v7, 0x2f800000, v4
	v_trunc_f32_e32 v7, v7
	v_fmac_f32_e32 v4, 0xcf800000, v7
	v_cvt_u32_f32_e32 v7, v7
	v_cvt_u32_f32_e32 v4, v4
	v_mul_lo_u32 v8, s0, v7
	v_mul_hi_u32 v9, s0, v4
	v_mul_lo_u32 v10, s22, v4
	v_add_nc_u32_e32 v8, v9, v8
	v_mul_lo_u32 v9, s0, v4
	v_add_nc_u32_e32 v8, v8, v10
	v_mul_hi_u32 v10, v4, v9
	v_mul_lo_u32 v11, v4, v8
	v_mul_hi_u32 v12, v4, v8
	v_mul_hi_u32 v13, v7, v9
	v_mul_lo_u32 v9, v7, v9
	v_mul_hi_u32 v14, v7, v8
	v_mul_lo_u32 v8, v7, v8
	v_add_co_u32 v10, vcc_lo, v10, v11
	v_add_co_ci_u32_e32 v11, vcc_lo, 0, v12, vcc_lo
	v_add_co_u32 v9, vcc_lo, v10, v9
	v_add_co_ci_u32_e32 v9, vcc_lo, v11, v13, vcc_lo
	v_add_co_ci_u32_e32 v10, vcc_lo, 0, v14, vcc_lo
	v_add_co_u32 v8, vcc_lo, v9, v8
	v_add_co_ci_u32_e32 v9, vcc_lo, 0, v10, vcc_lo
	v_add_co_u32 v4, vcc_lo, v4, v8
	v_add_co_ci_u32_e32 v7, vcc_lo, v7, v9, vcc_lo
	v_mul_hi_u32 v8, s0, v4
	v_mul_lo_u32 v10, s22, v4
	v_mul_lo_u32 v9, s0, v7
	v_add_nc_u32_e32 v8, v8, v9
	v_mul_lo_u32 v9, s0, v4
	v_add_nc_u32_e32 v8, v8, v10
	v_mul_hi_u32 v10, v4, v9
	v_mul_lo_u32 v11, v4, v8
	v_mul_hi_u32 v12, v4, v8
	v_mul_hi_u32 v13, v7, v9
	v_mul_lo_u32 v9, v7, v9
	v_mul_hi_u32 v14, v7, v8
	v_mul_lo_u32 v8, v7, v8
	v_add_co_u32 v10, vcc_lo, v10, v11
	v_add_co_ci_u32_e32 v11, vcc_lo, 0, v12, vcc_lo
	v_add_co_u32 v9, vcc_lo, v10, v9
	v_add_co_ci_u32_e32 v9, vcc_lo, v11, v13, vcc_lo
	v_add_co_ci_u32_e32 v10, vcc_lo, 0, v14, vcc_lo
	v_add_co_u32 v8, vcc_lo, v9, v8
	v_add_co_ci_u32_e32 v9, vcc_lo, 0, v10, vcc_lo
	v_add_co_u32 v4, vcc_lo, v4, v8
	v_add_co_ci_u32_e32 v11, vcc_lo, v7, v9, vcc_lo
	v_mul_hi_u32 v13, v5, v4
	v_mad_u64_u32 v[9:10], null, v6, v4, 0
	v_mad_u64_u32 v[7:8], null, v5, v11, 0
	;; [unrolled: 1-line block ×3, first 2 shown]
	v_add_co_u32 v4, vcc_lo, v13, v7
	v_add_co_ci_u32_e32 v7, vcc_lo, 0, v8, vcc_lo
	v_add_co_u32 v4, vcc_lo, v4, v9
	v_add_co_ci_u32_e32 v4, vcc_lo, v7, v10, vcc_lo
	v_add_co_ci_u32_e32 v7, vcc_lo, 0, v12, vcc_lo
	v_add_co_u32 v4, vcc_lo, v4, v11
	v_add_co_ci_u32_e32 v9, vcc_lo, 0, v7, vcc_lo
	v_mul_lo_u32 v10, s21, v4
	v_mad_u64_u32 v[7:8], null, s20, v4, 0
	v_mul_lo_u32 v11, s20, v9
	v_sub_co_u32 v7, vcc_lo, v5, v7
	v_add3_u32 v8, v8, v11, v10
	v_sub_nc_u32_e32 v10, v6, v8
	v_subrev_co_ci_u32_e64 v10, s0, s21, v10, vcc_lo
	v_add_co_u32 v11, s0, v4, 2
	v_add_co_ci_u32_e64 v12, s0, 0, v9, s0
	v_sub_co_u32 v13, s0, v7, s20
	v_sub_co_ci_u32_e32 v8, vcc_lo, v6, v8, vcc_lo
	v_subrev_co_ci_u32_e64 v10, s0, 0, v10, s0
	v_cmp_le_u32_e32 vcc_lo, s20, v13
	v_cmp_eq_u32_e64 s0, s21, v8
	v_cndmask_b32_e64 v13, 0, -1, vcc_lo
	v_cmp_le_u32_e32 vcc_lo, s21, v10
	v_cndmask_b32_e64 v14, 0, -1, vcc_lo
	v_cmp_le_u32_e32 vcc_lo, s20, v7
	;; [unrolled: 2-line block ×3, first 2 shown]
	v_cndmask_b32_e64 v15, 0, -1, vcc_lo
	v_cmp_eq_u32_e32 vcc_lo, s21, v10
	v_cndmask_b32_e64 v7, v15, v7, s0
	v_cndmask_b32_e32 v10, v14, v13, vcc_lo
	v_add_co_u32 v13, vcc_lo, v4, 1
	v_add_co_ci_u32_e32 v14, vcc_lo, 0, v9, vcc_lo
	v_cmp_ne_u32_e32 vcc_lo, 0, v10
	v_cndmask_b32_e32 v8, v14, v12, vcc_lo
	v_cndmask_b32_e32 v10, v13, v11, vcc_lo
	v_cmp_ne_u32_e32 vcc_lo, 0, v7
	v_cndmask_b32_e32 v8, v9, v8, vcc_lo
	v_cndmask_b32_e32 v7, v4, v10, vcc_lo
.LBB0_4:                                ;   in Loop: Header=BB0_2 Depth=1
	s_andn2_saveexec_b32 s0, s1
	s_cbranch_execz .LBB0_6
; %bb.5:                                ;   in Loop: Header=BB0_2 Depth=1
	v_cvt_f32_u32_e32 v4, s20
	s_sub_i32 s1, 0, s20
	v_rcp_iflag_f32_e32 v4, v4
	v_mul_f32_e32 v4, 0x4f7ffffe, v4
	v_cvt_u32_f32_e32 v4, v4
	v_mul_lo_u32 v7, s1, v4
	v_mul_hi_u32 v7, v4, v7
	v_add_nc_u32_e32 v4, v4, v7
	v_mul_hi_u32 v4, v5, v4
	v_mul_lo_u32 v7, v4, s20
	v_add_nc_u32_e32 v8, 1, v4
	v_sub_nc_u32_e32 v7, v5, v7
	v_subrev_nc_u32_e32 v9, s20, v7
	v_cmp_le_u32_e32 vcc_lo, s20, v7
	v_cndmask_b32_e32 v7, v7, v9, vcc_lo
	v_cndmask_b32_e32 v4, v4, v8, vcc_lo
	v_cmp_le_u32_e32 vcc_lo, s20, v7
	v_add_nc_u32_e32 v8, 1, v4
	v_cndmask_b32_e32 v7, v4, v8, vcc_lo
	v_mov_b32_e32 v8, v3
.LBB0_6:                                ;   in Loop: Header=BB0_2 Depth=1
	s_or_b32 exec_lo, exec_lo, s0
	s_load_dwordx2 s[0:1], s[6:7], 0x0
	v_mul_lo_u32 v4, v8, s20
	v_mul_lo_u32 v11, v7, s21
	v_mad_u64_u32 v[9:10], null, v7, s20, 0
	s_add_u32 s18, s18, 1
	s_addc_u32 s19, s19, 0
	s_add_u32 s6, s6, 8
	s_addc_u32 s7, s7, 0
	;; [unrolled: 2-line block ×3, first 2 shown]
	v_add3_u32 v4, v10, v11, v4
	v_sub_co_u32 v5, vcc_lo, v5, v9
	v_sub_co_ci_u32_e32 v4, vcc_lo, v6, v4, vcc_lo
	s_waitcnt lgkmcnt(0)
	v_mul_lo_u32 v6, s1, v5
	v_mul_lo_u32 v4, s0, v4
	v_mad_u64_u32 v[1:2], null, s0, v5, v[1:2]
	v_cmp_ge_u64_e64 s0, s[18:19], s[10:11]
	s_and_b32 vcc_lo, exec_lo, s0
	v_add3_u32 v2, v6, v2, v4
	s_cbranch_vccnz .LBB0_9
; %bb.7:                                ;   in Loop: Header=BB0_2 Depth=1
	v_mov_b32_e32 v5, v7
	v_mov_b32_e32 v6, v8
	s_branch .LBB0_2
.LBB0_8:
	v_mov_b32_e32 v8, v6
	v_mov_b32_e32 v7, v5
.LBB0_9:
	s_lshl_b64 s[0:1], s[10:11], 3
	v_mul_hi_u32 v3, 0x1ac5702, v0
	s_add_u32 s0, s14, s0
	s_addc_u32 s1, s15, s1
	v_mov_b32_e32 v10, 0
	s_load_dwordx2 s[0:1], s[0:1], 0x0
	s_load_dwordx2 s[4:5], s[4:5], 0x20
	v_mov_b32_e32 v9, 0
                                        ; implicit-def: $vgpr16
                                        ; implicit-def: $vgpr14
                                        ; implicit-def: $vgpr12
                                        ; implicit-def: $vgpr24
                                        ; implicit-def: $vgpr22
                                        ; implicit-def: $vgpr20
                                        ; implicit-def: $vgpr18
                                        ; implicit-def: $vgpr42
                                        ; implicit-def: $vgpr30
                                        ; implicit-def: $vgpr28
                                        ; implicit-def: $vgpr26
                                        ; implicit-def: $vgpr40
                                        ; implicit-def: $vgpr36
                                        ; implicit-def: $vgpr32
                                        ; implicit-def: $vgpr34
                                        ; implicit-def: $vgpr38
	v_mul_u32_u24_e32 v3, 0x99, v3
	v_sub_nc_u32_e32 v55, v0, v3
	s_waitcnt lgkmcnt(0)
	v_mul_lo_u32 v4, s0, v8
	v_mul_lo_u32 v5, s1, v7
	v_mad_u64_u32 v[1:2], null, s0, v7, v[1:2]
	v_cmp_gt_u64_e32 vcc_lo, s[4:5], v[7:8]
	v_cmp_gt_u32_e64 s0, 0x75, v55
	s_and_b32 s1, vcc_lo, s0
	v_add3_u32 v2, v5, v2, v4
	v_lshlrev_b64 v[4:5], 3, v[1:2]
	s_and_saveexec_b32 s4, s1
	s_cbranch_execz .LBB0_11
; %bb.10:
	v_add_nc_u32_e32 v10, 0x75, v55
	v_add_nc_u32_e32 v11, 0xea, v55
	v_mad_u64_u32 v[0:1], null, s2, v55, 0
	v_add_nc_u32_e32 v12, 0x15f, v55
	v_mad_u64_u32 v[2:3], null, s2, v10, 0
	v_mad_u64_u32 v[6:7], null, s2, v11, 0
	v_add_nc_u32_e32 v13, 0x1d4, v55
	v_add_nc_u32_e32 v14, 0x249, v55
	v_add_co_u32 v45, s1, s12, v4
	v_mad_u64_u32 v[8:9], null, s3, v55, v[1:2]
	v_mov_b32_e32 v1, v3
	v_mov_b32_e32 v3, v7
	v_mad_u64_u32 v[17:18], null, s2, v13, 0
	v_mad_u64_u32 v[19:20], null, s2, v14, 0
	;; [unrolled: 1-line block ×3, first 2 shown]
	v_mov_b32_e32 v1, v8
	v_mad_u64_u32 v[7:8], null, s3, v11, v[3:4]
	v_mad_u64_u32 v[10:11], null, s2, v12, 0
	v_lshlrev_b64 v[0:1], 3, v[0:1]
	v_mov_b32_e32 v3, v9
	v_add_co_ci_u32_e64 v46, s1, s13, v5, s1
	v_lshlrev_b64 v[6:7], 3, v[6:7]
	v_add_nc_u32_e32 v27, 0x2be, v55
	v_mov_b32_e32 v8, v11
	v_lshlrev_b64 v[2:3], 3, v[2:3]
	v_add_co_u32 v0, s1, v45, v0
	v_add_co_ci_u32_e64 v1, s1, v46, v1, s1
	v_mad_u64_u32 v[8:9], null, s3, v12, v[8:9]
	v_mov_b32_e32 v9, v20
	v_add_co_u32 v2, s1, v45, v2
	v_add_co_ci_u32_e64 v3, s1, v46, v3, s1
	v_add_co_u32 v6, s1, v45, v6
	v_mov_b32_e32 v11, v8
	v_mov_b32_e32 v8, v18
	v_add_co_ci_u32_e64 v7, s1, v46, v7, s1
	v_add_nc_u32_e32 v28, 0x333, v55
	v_lshlrev_b64 v[10:11], 3, v[10:11]
	v_mad_u64_u32 v[12:13], null, s3, v13, v[8:9]
	v_mad_u64_u32 v[23:24], null, s2, v27, 0
	;; [unrolled: 1-line block ×3, first 2 shown]
	v_add_co_u32 v21, s1, v45, v10
	v_add_co_ci_u32_e64 v22, s1, v46, v11, s1
	v_mad_u64_u32 v[8:9], null, s3, v14, v[9:10]
	v_mov_b32_e32 v18, v12
	s_clause 0x3
	global_load_dwordx2 v[9:10], v[0:1], off
	global_load_dwordx2 v[15:16], v[2:3], off
	global_load_dwordx2 v[13:14], v[6:7], off
	global_load_dwordx2 v[11:12], v[21:22], off
	v_mov_b32_e32 v2, v24
	v_mov_b32_e32 v3, v26
	v_add_nc_u32_e32 v21, 0x41d, v55
	v_lshlrev_b64 v[0:1], 3, v[17:18]
	v_mov_b32_e32 v20, v8
	v_add_nc_u32_e32 v33, 0x492, v55
	v_mad_u64_u32 v[17:18], null, s3, v27, v[2:3]
	v_mad_u64_u32 v[2:3], null, s3, v28, v[3:4]
	v_lshlrev_b64 v[6:7], 3, v[19:20]
	v_add_nc_u32_e32 v19, 0x3a8, v55
	v_add_co_u32 v0, s1, v45, v0
	v_mov_b32_e32 v24, v17
	v_add_co_ci_u32_e64 v1, s1, v46, v1, s1
	v_mad_u64_u32 v[27:28], null, s2, v19, 0
	v_mov_b32_e32 v26, v2
	v_add_co_u32 v2, s1, v45, v6
	v_add_co_ci_u32_e64 v3, s1, v46, v7, s1
	v_lshlrev_b64 v[7:8], 3, v[23:24]
	v_lshlrev_b64 v[17:18], 3, v[25:26]
	v_mad_u64_u32 v[25:26], null, s2, v21, 0
	v_mov_b32_e32 v6, v28
	v_mad_u64_u32 v[29:30], null, s2, v33, 0
	v_add_nc_u32_e32 v35, 0x57c, v55
	v_add_nc_u32_e32 v47, 0x6db, v55
	v_mad_u64_u32 v[19:20], null, s3, v19, v[6:7]
	v_add_co_u32 v6, s1, v45, v7
	v_add_co_ci_u32_e64 v7, s1, v46, v8, s1
	v_mov_b32_e32 v8, v26
	v_add_co_u32 v17, s1, v45, v17
	v_add_co_ci_u32_e64 v18, s1, v46, v18, s1
	v_mov_b32_e32 v28, v19
	v_mad_u64_u32 v[37:38], null, s2, v47, 0
	s_waitcnt vmcnt(3)
	v_mad_u64_u32 v[31:32], null, s3, v21, v[8:9]
	v_add_nc_u32_e32 v32, 0x507, v55
	s_clause 0x3
	global_load_dwordx2 v[23:24], v[0:1], off
	global_load_dwordx2 v[21:22], v[2:3], off
	;; [unrolled: 1-line block ×4, first 2 shown]
	v_mov_b32_e32 v2, v30
	v_lshlrev_b64 v[0:1], 3, v[27:28]
	v_mad_u64_u32 v[6:7], null, s2, v32, 0
	v_mov_b32_e32 v26, v31
	v_mad_u64_u32 v[2:3], null, s3, v33, v[2:3]
	v_add_co_u32 v0, s1, v45, v0
	v_add_co_ci_u32_e64 v1, s1, v46, v1, s1
	v_mov_b32_e32 v3, v7
	v_lshlrev_b64 v[7:8], 3, v[25:26]
	v_mov_b32_e32 v30, v2
	v_mad_u64_u32 v[2:3], null, s3, v32, v[3:4]
	v_mad_u64_u32 v[31:32], null, s2, v35, 0
	v_add_co_u32 v25, s1, v45, v7
	v_add_co_ci_u32_e64 v26, s1, v46, v8, s1
	v_add_nc_u32_e32 v8, 0x5f1, v55
	v_mov_b32_e32 v7, v2
	v_mov_b32_e32 v2, v32
	v_lshlrev_b64 v[27:28], 3, v[29:30]
	v_add_nc_u32_e32 v29, 0x666, v55
	v_mad_u64_u32 v[33:34], null, s2, v8, 0
	v_mad_u64_u32 v[2:3], null, s3, v35, v[2:3]
	;; [unrolled: 1-line block ×3, first 2 shown]
	v_lshlrev_b64 v[6:7], 3, v[6:7]
	v_add_co_u32 v27, s1, v45, v27
	v_mov_b32_e32 v3, v34
	v_mov_b32_e32 v32, v2
	v_add_co_ci_u32_e64 v28, s1, v46, v28, s1
	v_add_co_u32 v6, s1, v45, v6
	v_mad_u64_u32 v[2:3], null, s3, v8, v[3:4]
	v_add_nc_u32_e32 v8, 0x750, v55
	v_mov_b32_e32 v3, v36
	v_add_co_ci_u32_e64 v7, s1, v46, v7, s1
	v_mad_u64_u32 v[43:44], null, s2, v8, 0
	v_mad_u64_u32 v[39:40], null, s3, v29, v[3:4]
	s_clause 0x3
	global_load_dwordx2 v[41:42], v[0:1], off
	global_load_dwordx2 v[29:30], v[25:26], off
	;; [unrolled: 1-line block ×4, first 2 shown]
	v_mov_b32_e32 v0, v38
	v_lshlrev_b64 v[6:7], 3, v[31:32]
	v_mov_b32_e32 v34, v2
	v_mad_u64_u32 v[0:1], null, s3, v47, v[0:1]
	v_mov_b32_e32 v1, v44
	v_add_co_u32 v2, s1, v45, v6
	v_mov_b32_e32 v36, v39
	v_add_co_ci_u32_e64 v3, s1, v46, v7, s1
	v_mad_u64_u32 v[31:32], null, s3, v8, v[1:2]
	v_lshlrev_b64 v[6:7], 3, v[33:34]
	v_lshlrev_b64 v[32:33], 3, v[35:36]
	v_mov_b32_e32 v38, v0
	v_add_co_u32 v0, s1, v45, v6
	v_mov_b32_e32 v44, v31
	v_add_co_ci_u32_e64 v1, s1, v46, v7, s1
	v_lshlrev_b64 v[6:7], 3, v[37:38]
	v_add_co_u32 v31, s1, v45, v32
	v_add_co_ci_u32_e64 v32, s1, v46, v33, s1
	v_lshlrev_b64 v[33:34], 3, v[43:44]
	v_add_co_u32 v6, s1, v45, v6
	v_add_co_ci_u32_e64 v7, s1, v46, v7, s1
	v_add_co_u32 v43, s1, v45, v33
	v_add_co_ci_u32_e64 v44, s1, v46, v34, s1
	s_clause 0x4
	global_load_dwordx2 v[39:40], v[2:3], off
	global_load_dwordx2 v[35:36], v[0:1], off
	;; [unrolled: 1-line block ×5, first 2 shown]
.LBB0_11:
	s_or_b32 exec_lo, exec_lo, s4
	s_waitcnt vmcnt(0)
	v_sub_f32_e32 v71, v16, v32
	v_add_f32_e32 v56, v15, v31
	v_sub_f32_e32 v72, v14, v34
	v_add_f32_e32 v57, v13, v33
	v_sub_f32_e32 v73, v12, v38
	v_mul_f32_e32 v6, 0xbeb8f4ab, v71
	v_mul_f32_e32 v45, 0xbf2c7751, v71
	;; [unrolled: 1-line block ×3, first 2 shown]
	v_add_f32_e32 v59, v11, v37
	v_mul_f32_e32 v43, 0xbf7ee86f, v72
	v_fma_f32 v0, 0x3f6eb680, v56, -v6
	v_mul_f32_e32 v7, 0xbf65296c, v73
	v_fma_f32 v1, 0x3f3d2fb0, v56, -v45
	v_fma_f32 v2, 0x3f3d2fb0, v57, -v8
	v_sub_f32_e32 v74, v24, v36
	v_add_f32_e32 v0, v9, v0
	v_add_f32_e32 v60, v23, v35
	v_fma_f32 v3, 0x3dbcf732, v57, -v43
	v_fma_f32 v47, 0x3ee437d1, v59, -v7
	v_add_f32_e32 v1, v9, v1
	v_add_f32_e32 v0, v0, v2
	v_mul_f32_e32 v46, 0xbf4c4adb, v73
	v_mul_f32_e32 v44, 0xbf7ee86f, v74
	v_sub_f32_e32 v75, v22, v40
	v_add_f32_e32 v1, v1, v3
	v_add_f32_e32 v0, v0, v47
	v_fma_f32 v2, 0xbf1a4643, v59, -v46
	v_fma_f32 v3, 0x3dbcf732, v60, -v44
	v_mul_f32_e32 v48, 0xbe3c28d5, v74
	v_add_f32_e32 v54, v21, v39
	v_mul_f32_e32 v47, 0xbf763a35, v75
	v_sub_f32_e32 v77, v20, v26
	v_add_f32_e32 v1, v1, v2
	v_add_f32_e32 v0, v3, v0
	v_fma_f32 v2, 0xbf7ba420, v60, -v48
	v_fma_f32 v3, 0xbe8c1d8e, v54, -v47
	v_mul_f32_e32 v49, 0x3f06c442, v75
	v_add_f32_e32 v58, v19, v25
	;; [unrolled: 8-line block ×3, first 2 shown]
	v_mul_f32_e32 v51, 0xbf06c442, v79
	v_add_f32_e32 v1, v2, v1
	v_add_f32_e32 v0, v3, v0
	v_fma_f32 v2, 0xbe8c1d8e, v58, -v52
	v_mul_f32_e32 v53, 0x3f65296c, v79
	v_fma_f32 v3, 0xbf59a7d5, v61, -v51
	v_mul_f32_e32 v76, 0xbf65296c, v71
	v_mul_f32_e32 v83, 0xbf7ee86f, v71
	v_add_f32_e32 v1, v2, v1
	v_fma_f32 v2, 0x3ee437d1, v61, -v53
	v_add_f32_e32 v0, v3, v0
	v_fma_f32 v3, 0x3ee437d1, v56, -v76
	v_mul_f32_e32 v80, 0xbf4c4adb, v72
	v_fma_f32 v62, 0x3dbcf732, v56, -v83
	v_mul_f32_e32 v84, 0xbe3c28d5, v72
	v_add_f32_e32 v2, v2, v1
	v_add_f32_e32 v1, v9, v3
	v_fma_f32 v3, 0xbf1a4643, v57, -v80
	v_add_f32_e32 v62, v9, v62
	v_fma_f32 v63, 0xbf7ba420, v57, -v84
	v_mul_f32_e32 v69, 0x3e3c28d5, v73
	v_mul_f32_e32 v85, 0x3f763a35, v73
	v_add_f32_e32 v1, v1, v3
	v_mul_f32_e32 v70, 0x3f763a35, v74
	v_add_f32_e32 v3, v62, v63
	v_fma_f32 v62, 0xbf7ba420, v59, -v69
	v_fma_f32 v63, 0xbe8c1d8e, v59, -v85
	v_mul_f32_e32 v86, 0x3eb8f4ab, v74
	v_mul_f32_e32 v68, 0x3f2c7751, v75
	;; [unrolled: 1-line block ×3, first 2 shown]
	v_add_f32_e32 v1, v1, v62
	v_add_f32_e32 v3, v3, v63
	v_fma_f32 v63, 0xbe8c1d8e, v60, -v70
	v_fma_f32 v64, 0x3f6eb680, v60, -v86
	v_mul_f32_e32 v67, 0xbeb8f4ab, v77
	v_mul_f32_e32 v88, 0xbf06c442, v77
	v_sub_f32_e32 v82, v42, v30
	v_add_f32_e32 v1, v63, v1
	v_add_f32_e32 v3, v64, v3
	v_fma_f32 v63, 0x3f3d2fb0, v54, -v68
	v_fma_f32 v64, 0x3ee437d1, v54, -v87
	;; [unrolled: 1-line block ×3, first 2 shown]
	v_mul_f32_e32 v65, 0xbf7ee86f, v79
	v_mul_f32_e32 v81, 0x3f4c4adb, v79
	v_add_f32_e32 v1, v63, v1
	v_add_f32_e32 v3, v64, v3
	v_fma_f32 v64, 0x3f6eb680, v58, -v67
	v_add_f32_e32 v66, v41, v29
	v_mul_f32_e32 v62, 0xbe3c28d5, v82
	v_mul_f32_e32 v63, 0x3eb8f4ab, v82
	v_add_f32_e32 v3, v78, v3
	v_add_f32_e32 v1, v64, v1
	v_fma_f32 v90, 0x3dbcf732, v61, -v65
	v_fma_f32 v91, 0xbf1a4643, v61, -v81
	v_mul_f32_e32 v64, 0xbf06c442, v82
	v_mul_f32_e32 v78, 0x3f2c7751, v82
	v_fma_f32 v89, 0xbf7ba420, v66, -v62
	v_fma_f32 v92, 0x3f6eb680, v66, -v63
	v_add_f32_e32 v90, v90, v1
	v_add_f32_e32 v91, v91, v3
	v_fma_f32 v3, 0xbf59a7d5, v66, -v64
	v_fma_f32 v93, 0x3f3d2fb0, v66, -v78
	v_add_f32_e32 v1, v89, v0
	v_add_f32_e32 v0, v92, v2
	v_add_f32_e32 v3, v3, v90
	v_add_f32_e32 v2, v93, v91
	s_and_saveexec_b32 s1, s0
	s_cbranch_execz .LBB0_13
; %bb.12:
	v_mul_f32_e32 v89, 0xbf7ba420, v56
	v_mul_f32_e32 v90, 0x3f6eb680, v57
	;; [unrolled: 1-line block ×5, first 2 shown]
	v_fmamk_f32 v94, v71, 0x3e3c28d5, v89
	v_fmac_f32_e32 v89, 0xbe3c28d5, v71
	v_fmamk_f32 v97, v72, 0xbeb8f4ab, v90
	v_fmac_f32_e32 v90, 0x3eb8f4ab, v72
	v_fmamk_f32 v99, v73, 0x3f06c442, v93
	v_add_f32_e32 v94, v9, v94
	v_add_f32_e32 v89, v9, v89
	v_fmac_f32_e32 v93, 0xbf06c442, v73
	v_mul_f32_e32 v92, 0x3ee437d1, v57
	v_mul_f32_e32 v96, 0xbf1a4643, v54
	v_add_f32_e32 v94, v94, v97
	v_add_f32_e32 v89, v89, v90
	v_fmamk_f32 v98, v71, 0x3f06c442, v91
	v_fmamk_f32 v90, v74, 0xbf2c7751, v95
	v_fmac_f32_e32 v95, 0x3f2c7751, v74
	v_add_f32_e32 v94, v94, v99
	v_add_f32_e32 v89, v89, v93
	v_fmamk_f32 v97, v72, 0xbf65296c, v92
	v_fmamk_f32 v99, v75, 0x3f4c4adb, v96
	v_add_f32_e32 v93, v9, v98
	v_add_f32_e32 v90, v90, v94
	v_mul_f32_e32 v94, 0x3ee437d1, v58
	v_fmac_f32_e32 v96, 0xbf4c4adb, v75
	v_add_f32_e32 v89, v95, v89
	v_add_f32_e32 v93, v93, v97
	;; [unrolled: 1-line block ×3, first 2 shown]
	v_fmamk_f32 v95, v77, 0xbf65296c, v94
	v_mul_f32_e32 v97, 0x3dbcf732, v59
	v_add_f32_e32 v89, v96, v89
	v_fmac_f32_e32 v94, 0x3f65296c, v77
	v_mul_f32_e32 v96, 0xbe8c1d8e, v61
	v_add_f32_e32 v90, v95, v90
	v_fmamk_f32 v95, v73, 0x3f7ee86f, v97
	v_mul_f32_e32 v98, 0xbf1a4643, v60
	v_add_f32_e32 v89, v94, v89
	v_fmamk_f32 v94, v79, 0x3f763a35, v96
	;; [unrolled: 3-line block ×3, first 2 shown]
	v_mul_f32_e32 v100, 0x3f6eb680, v54
	v_fmac_f32_e32 v96, 0xbf763a35, v79
	v_add_f32_e32 v90, v94, v90
	v_fmamk_f32 v94, v82, 0xbf7ee86f, v99
	v_add_f32_e32 v93, v95, v93
	v_fmamk_f32 v95, v75, 0x3eb8f4ab, v100
	v_add_f32_e32 v89, v96, v89
	v_mul_f32_e32 v96, 0xbf7ba420, v58
	v_fmac_f32_e32 v91, 0xbf06c442, v71
	v_add_f32_e32 v90, v94, v90
	v_mul_f32_e32 v94, 0xbf1a4643, v56
	v_add_f32_e32 v93, v95, v93
	v_fmamk_f32 v95, v77, 0x3e3c28d5, v96
	v_add_f32_e32 v91, v9, v91
	v_fmac_f32_e32 v92, 0x3f65296c, v72
	v_fmamk_f32 v101, v71, 0x3f4c4adb, v94
	v_mul_f32_e32 v102, 0xbe8c1d8e, v57
	v_add_f32_e32 v93, v95, v93
	v_fmac_f32_e32 v97, 0xbf7ee86f, v73
	v_add_f32_e32 v91, v91, v92
	v_add_f32_e32 v92, v9, v101
	v_fmamk_f32 v95, v72, 0xbf763a35, v102
	v_mul_f32_e32 v101, 0x3f6eb680, v59
	v_fmac_f32_e32 v98, 0x3f4c4adb, v74
	v_add_f32_e32 v91, v91, v97
	v_mul_f32_e32 v97, 0xbf59a7d5, v60
	v_add_f32_e32 v92, v92, v95
	v_fmamk_f32 v95, v73, 0x3eb8f4ab, v101
	v_fmac_f32_e32 v100, 0xbeb8f4ab, v75
	v_add_f32_e32 v91, v98, v91
	v_mul_f32_e32 v98, 0x3dbcf732, v54
	v_mul_f32_e32 v103, 0x3f3d2fb0, v61
	v_add_f32_e32 v92, v92, v95
	v_fmamk_f32 v95, v74, 0x3f06c442, v97
	v_add_f32_e32 v91, v100, v91
	v_fmac_f32_e32 v96, 0xbe3c28d5, v77
	v_mul_f32_e32 v100, 0x3f3d2fb0, v58
	v_fmamk_f32 v104, v79, 0xbf2c7751, v103
	v_add_f32_e32 v92, v95, v92
	v_fmamk_f32 v95, v75, 0xbf7ee86f, v98
	v_add_f32_e32 v91, v96, v91
	v_mul_f32_e32 v96, 0xbf7ba420, v61
	v_add_f32_e32 v93, v104, v93
	v_mul_f32_e32 v104, 0xbe8c1d8e, v66
	v_add_f32_e32 v92, v95, v92
	v_fmamk_f32 v95, v77, 0x3f2c7751, v100
	v_fmac_f32_e32 v103, 0x3f2c7751, v79
	v_fmac_f32_e32 v94, 0xbf4c4adb, v71
	v_fmamk_f32 v105, v82, 0x3f763a35, v104
	v_fmac_f32_e32 v104, 0xbf763a35, v82
	v_add_f32_e32 v92, v95, v92
	v_fmamk_f32 v95, v79, 0x3e3c28d5, v96
	v_add_f32_e32 v91, v103, v91
	v_add_f32_e32 v94, v9, v94
	v_fmac_f32_e32 v102, 0x3f763a35, v72
	v_mul_f32_e32 v103, 0xbf59a7d5, v57
	v_add_f32_e32 v92, v95, v92
	v_mul_f32_e32 v95, 0xbe8c1d8e, v56
	v_add_f32_e32 v91, v104, v91
	v_fmac_f32_e32 v101, 0xbeb8f4ab, v73
	v_fmac_f32_e32 v99, 0x3f7ee86f, v82
	;; [unrolled: 1-line block ×3, first 2 shown]
	v_fmamk_f32 v104, v71, 0x3f763a35, v95
	v_fmac_f32_e32 v95, 0xbf763a35, v71
	v_add_f32_e32 v71, v94, v102
	v_fmamk_f32 v94, v72, 0xbf06c442, v103
	v_fmac_f32_e32 v103, 0x3f06c442, v72
	v_mul_f32_e32 v102, 0x3f3d2fb0, v59
	v_add_f32_e32 v72, v9, v95
	v_add_f32_e32 v71, v71, v101
	v_add_f32_e32 v89, v99, v89
	v_mul_f32_e32 v99, 0x3ee437d1, v66
	v_fmac_f32_e32 v98, 0x3f7ee86f, v75
	v_add_f32_e32 v72, v72, v103
	v_fmamk_f32 v103, v73, 0xbf2c7751, v102
	v_fmac_f32_e32 v102, 0x3f2c7751, v73
	v_mul_f32_e32 v73, 0x3ee437d1, v60
	v_add_f32_e32 v71, v97, v71
	v_fmamk_f32 v95, v82, 0xbf65296c, v99
	v_fmac_f32_e32 v100, 0xbf2c7751, v77
	v_add_f32_e32 v72, v72, v102
	v_fmamk_f32 v97, v74, 0x3f65296c, v73
	v_fmac_f32_e32 v73, 0xbf65296c, v74
	v_mul_f32_e32 v74, 0xbf7ba420, v54
	v_fmac_f32_e32 v96, 0xbe3c28d5, v79
	v_fmac_f32_e32 v99, 0x3f65296c, v82
	v_add_f32_e32 v101, v9, v104
	v_add_f32_e32 v72, v73, v72
	v_fmamk_f32 v73, v75, 0x3e3c28d5, v74
	v_fmac_f32_e32 v74, 0xbe3c28d5, v75
	v_add_f32_e32 v75, v95, v92
	v_mul_f32_e32 v92, 0x3dbcf732, v58
	v_add_f32_e32 v94, v101, v94
	v_add_f32_e32 v71, v98, v71
	;; [unrolled: 1-line block ×3, first 2 shown]
	v_mul_f32_e32 v74, 0x3dbcf732, v56
	v_fmamk_f32 v95, v77, 0xbf7ee86f, v92
	v_fmac_f32_e32 v92, 0x3f7ee86f, v77
	v_mul_f32_e32 v77, 0xbf7ba420, v57
	v_add_f32_e32 v94, v94, v103
	v_add_f32_e32 v74, v83, v74
	v_mul_f32_e32 v83, 0x3f6eb680, v61
	v_add_f32_e32 v72, v92, v72
	v_add_f32_e32 v77, v84, v77
	v_mul_f32_e32 v84, 0xbe8c1d8e, v59
	v_add_f32_e32 v74, v9, v74
	v_fmamk_f32 v92, v79, 0x3eb8f4ab, v83
	v_fmac_f32_e32 v83, 0xbeb8f4ab, v79
	v_mul_f32_e32 v79, 0x3f6eb680, v56
	v_add_f32_e32 v94, v97, v94
	v_add_f32_e32 v74, v74, v77
	;; [unrolled: 1-line block ×3, first 2 shown]
	v_mul_f32_e32 v84, 0x3f6eb680, v60
	v_add_f32_e32 v72, v83, v72
	v_mul_f32_e32 v83, 0xbf1a4643, v66
	v_add_f32_e32 v6, v6, v79
	v_add_f32_e32 v74, v74, v77
	v_mul_f32_e32 v77, 0x3ee437d1, v54
	v_add_f32_e32 v84, v86, v84
	v_mul_f32_e32 v86, 0x3dbcf732, v57
	v_fmamk_f32 v85, v82, 0x3f4c4adb, v83
	v_fmac_f32_e32 v83, 0xbf4c4adb, v82
	v_add_f32_e32 v77, v87, v77
	v_add_f32_e32 v74, v84, v74
	v_mul_f32_e32 v87, 0xbf59a7d5, v58
	v_mul_f32_e32 v84, 0x3f3d2fb0, v57
	;; [unrolled: 1-line block ×4, first 2 shown]
	v_add_f32_e32 v74, v77, v74
	v_add_f32_e32 v87, v88, v87
	v_mul_f32_e32 v56, 0x3ee437d1, v56
	v_add_f32_e32 v57, v80, v57
	v_mul_f32_e32 v80, 0xbf1a4643, v61
	v_add_f32_e32 v45, v45, v82
	v_add_f32_e32 v74, v87, v74
	;; [unrolled: 1-line block ×5, first 2 shown]
	v_mul_f32_e32 v81, 0xbe8c1d8e, v54
	v_add_f32_e32 v72, v83, v72
	v_add_f32_e32 v87, v87, v13
	;; [unrolled: 1-line block ×4, first 2 shown]
	v_mul_f32_e32 v83, 0x3ee437d1, v59
	v_add_f32_e32 v6, v9, v6
	v_add_f32_e32 v80, v87, v11
	;; [unrolled: 1-line block ×3, first 2 shown]
	v_mul_f32_e32 v57, 0xbf59a7d5, v54
	v_mul_f32_e32 v54, 0x3f3d2fb0, v54
	v_add_f32_e32 v8, v8, v84
	v_add_f32_e32 v80, v80, v23
	;; [unrolled: 1-line block ×5, first 2 shown]
	v_mul_f32_e32 v88, 0x3dbcf732, v60
	v_add_f32_e32 v80, v80, v21
	v_add_f32_e32 v6, v6, v8
	v_add_f32_e32 v7, v7, v83
	v_add_f32_e32 v8, v9, v43
	v_mul_f32_e32 v77, 0xbf1a4643, v59
	v_add_f32_e32 v79, v80, v19
	v_mul_f32_e32 v59, 0xbf7ba420, v59
	v_add_f32_e32 v6, v6, v7
	v_add_f32_e32 v7, v44, v88
	v_mul_f32_e32 v76, 0xbf7ba420, v60
	v_add_f32_e32 v68, v79, v17
	v_mul_f32_e32 v60, 0xbe8c1d8e, v60
	v_add_f32_e32 v59, v69, v59
	v_add_f32_e32 v43, v46, v77
	;; [unrolled: 1-line block ×9, first 2 shown]
	v_mul_f32_e32 v69, 0xbf1a4643, v58
	v_mul_f32_e32 v87, 0xbe8c1d8e, v58
	;; [unrolled: 1-line block ×4, first 2 shown]
	v_add_f32_e32 v9, v9, v27
	v_add_f32_e32 v56, v60, v56
	;; [unrolled: 1-line block ×4, first 2 shown]
	v_mul_f32_e32 v70, 0xbf59a7d5, v61
	v_add_f32_e32 v7, v9, v25
	v_add_f32_e32 v9, v47, v81
	;; [unrolled: 1-line block ×3, first 2 shown]
	v_mul_f32_e32 v78, 0x3ee437d1, v61
	v_mul_f32_e32 v61, 0x3dbcf732, v61
	v_add_f32_e32 v7, v7, v39
	v_add_f32_e32 v6, v9, v6
	;; [unrolled: 1-line block ×9, first 2 shown]
	v_mul_f32_e32 v60, 0xbf7ba420, v66
	v_add_f32_e32 v6, v9, v6
	v_add_f32_e32 v9, v51, v70
	;; [unrolled: 1-line block ×3, first 2 shown]
	v_mul_f32_e32 v80, 0x3f6eb680, v66
	v_mul_f32_e32 v66, 0xbf59a7d5, v66
	v_add_f32_e32 v44, v45, v54
	v_add_f32_e32 v45, v65, v61
	;; [unrolled: 1-line block ×17, first 2 shown]
	v_mad_u32_u24 v9, 0x44, v55, 0
	v_add_f32_e32 v44, v45, v44
	v_add_f32_e32 v8, v43, v8
	;; [unrolled: 1-line block ×6, first 2 shown]
	ds_write2_b32 v9, v7, v6 offset1:1
	ds_write2_b32 v9, v8, v44 offset0:2 offset1:3
	ds_write2_b32 v9, v43, v72 offset0:4 offset1:5
	;; [unrolled: 1-line block ×7, first 2 shown]
	ds_write_b32 v9, v1 offset:64
.LBB0_13:
	s_or_b32 exec_lo, exec_lo, s1
	v_sub_f32_e32 v89, v15, v31
	v_add_f32_e32 v85, v16, v32
	v_sub_f32_e32 v79, v13, v33
	v_add_f32_e32 v75, v14, v34
	v_sub_f32_e32 v74, v11, v37
	v_mul_f32_e32 v91, 0xbeb8f4ab, v89
	v_mul_f32_e32 v94, 0xbf7ee86f, v89
	;; [unrolled: 1-line block ×5, first 2 shown]
	v_fmamk_f32 v6, v85, 0x3f6eb680, v91
	v_fmamk_f32 v9, v85, 0x3dbcf732, v94
	v_mul_f32_e32 v87, 0xbe3c28d5, v79
	v_fmamk_f32 v7, v85, 0x3f3d2fb0, v92
	v_fmamk_f32 v8, v85, 0x3ee437d1, v93
	v_add_f32_e32 v6, v10, v6
	v_mul_f32_e32 v88, 0xbf7ee86f, v79
	v_mul_f32_e32 v86, 0xbf4c4adb, v79
	v_fmamk_f32 v13, v75, 0x3f3d2fb0, v90
	v_add_f32_e32 v9, v10, v9
	v_fmamk_f32 v11, v75, 0xbf7ba420, v87
	v_add_f32_e32 v72, v12, v38
	v_mul_f32_e32 v83, 0xbf65296c, v74
	v_sub_f32_e32 v68, v23, v35
	v_add_f32_e32 v7, v10, v7
	v_add_f32_e32 v8, v10, v8
	v_fmamk_f32 v15, v75, 0x3dbcf732, v88
	v_fmamk_f32 v31, v75, 0xbf1a4643, v86
	v_add_f32_e32 v6, v6, v13
	v_add_f32_e32 v9, v9, v11
	v_mul_f32_e32 v84, 0xbf4c4adb, v74
	v_mul_f32_e32 v81, 0x3e3c28d5, v74
	v_fmamk_f32 v11, v72, 0x3ee437d1, v83
	v_add_f32_e32 v66, v24, v36
	v_mul_f32_e32 v76, 0xbf7ee86f, v68
	v_sub_f32_e32 v60, v21, v39
	v_add_f32_e32 v7, v7, v15
	v_add_f32_e32 v8, v8, v31
	v_mul_f32_e32 v82, 0x3f763a35, v74
	v_fmamk_f32 v13, v72, 0xbf1a4643, v84
	v_fmamk_f32 v15, v72, 0xbf7ba420, v81
	v_add_f32_e32 v6, v6, v11
	v_fmamk_f32 v11, v66, 0x3dbcf732, v76
	v_mul_f32_e32 v80, 0xbe3c28d5, v68
	v_mul_f32_e32 v78, 0x3f763a35, v68
	v_add_f32_e32 v58, v22, v40
	v_mul_f32_e32 v69, 0xbf763a35, v60
	v_fmamk_f32 v23, v72, 0xbe8c1d8e, v82
	v_add_f32_e32 v7, v7, v13
	v_add_f32_e32 v8, v8, v15
	v_mul_f32_e32 v77, 0x3eb8f4ab, v68
	v_fmamk_f32 v13, v66, 0xbf7ba420, v80
	v_fmamk_f32 v15, v66, 0xbe8c1d8e, v78
	v_add_f32_e32 v6, v11, v6
	v_fmamk_f32 v11, v58, 0xbe8c1d8e, v69
	v_mul_f32_e32 v70, 0x3f06c442, v60
	v_sub_f32_e32 v35, v19, v25
	v_mul_f32_e32 v73, 0x3f2c7751, v60
	v_add_f32_e32 v9, v9, v23
	v_fmamk_f32 v21, v66, 0x3f6eb680, v77
	v_add_f32_e32 v7, v13, v7
	v_add_f32_e32 v8, v15, v8
	;; [unrolled: 1-line block ×3, first 2 shown]
	v_mul_f32_e32 v71, 0xbf65296c, v60
	v_fmamk_f32 v11, v58, 0xbf59a7d5, v70
	v_add_f32_e32 v33, v20, v26
	v_fmamk_f32 v13, v58, 0x3f3d2fb0, v73
	v_mul_f32_e32 v65, 0x3f763a35, v35
	v_mul_f32_e32 v63, 0xbf4c4adb, v35
	v_add_f32_e32 v9, v21, v9
	v_fmamk_f32 v15, v58, 0x3ee437d1, v71
	v_add_f32_e32 v7, v11, v7
	v_add_f32_e32 v8, v13, v8
	v_fmamk_f32 v13, v33, 0xbe8c1d8e, v65
	v_sub_f32_e32 v27, v17, v27
	v_mul_f32_e32 v67, 0xbf06c442, v35
	v_fmamk_f32 v11, v33, 0xbf1a4643, v63
	v_mul_f32_e32 v64, 0xbeb8f4ab, v35
	v_add_f32_e32 v9, v15, v9
	v_add_f32_e32 v7, v13, v7
	v_add_f32_e32 v25, v18, v28
	v_fmamk_f32 v13, v33, 0xbf59a7d5, v67
	v_mul_f32_e32 v57, 0x3f65296c, v27
	v_add_f32_e32 v6, v11, v6
	v_fmamk_f32 v11, v33, 0x3f6eb680, v64
	v_mul_f32_e32 v37, 0xbf7ee86f, v27
	v_mul_f32_e32 v39, 0xbf06c442, v27
	v_sub_f32_e32 v15, v41, v29
	v_lshl_add_u32 v29, v55, 2, 0
	v_add_f32_e32 v9, v13, v9
	v_fmamk_f32 v13, v25, 0x3ee437d1, v57
	v_add_f32_e32 v8, v11, v8
	v_fmamk_f32 v17, v25, 0x3dbcf732, v37
	v_fmamk_f32 v11, v25, 0xbf59a7d5, v39
	v_add_nc_u32_e32 v21, 0x400, v29
	v_add_nc_u32_e32 v23, 0x800, v29
	v_add_f32_e32 v95, v13, v7
	v_add_nc_u32_e32 v13, 0xe00, v29
	v_add_f32_e32 v8, v17, v8
	v_add_nc_u32_e32 v17, 0x1200, v29
	v_add_nc_u32_e32 v19, 0x1700, v29
	v_add_f32_e32 v6, v11, v6
	s_waitcnt lgkmcnt(0)
	s_barrier
	buffer_gl0_inv
	ds_read2_b32 v[43:44], v29 offset1:153
	ds_read2_b32 v[53:54], v21 offset0:50 offset1:203
	ds_read2_b32 v[51:52], v23 offset0:100 offset1:253
	;; [unrolled: 1-line block ×5, first 2 shown]
	ds_read_b32 v11, v29 offset:7344
	v_mul_f32_e32 v56, 0x3f4c4adb, v27
	v_add_f32_e32 v31, v42, v30
	v_mul_f32_e32 v62, 0xbe3c28d5, v15
	v_mul_f32_e32 v61, 0x3eb8f4ab, v15
	;; [unrolled: 1-line block ×3, first 2 shown]
	v_fmamk_f32 v7, v25, 0xbf1a4643, v56
	v_mul_f32_e32 v59, 0x3f2c7751, v15
	s_waitcnt lgkmcnt(0)
	s_barrier
	v_fmamk_f32 v97, v31, 0xbf59a7d5, v41
	v_add_f32_e32 v96, v7, v9
	v_fmamk_f32 v7, v31, 0xbf7ba420, v62
	v_fmamk_f32 v9, v31, 0x3f6eb680, v61
	;; [unrolled: 1-line block ×3, first 2 shown]
	buffer_gl0_inv
	v_add_f32_e32 v7, v7, v6
	v_add_f32_e32 v6, v9, v95
	;; [unrolled: 1-line block ×4, first 2 shown]
	s_and_saveexec_b32 s1, s0
	s_cbranch_execz .LBB0_15
; %bb.14:
	v_add_f32_e32 v16, v10, v16
	v_mul_f32_e32 v95, 0x3f6eb680, v85
	v_mul_f32_e32 v96, 0x3f3d2fb0, v85
	;; [unrolled: 1-line block ×4, first 2 shown]
	v_add_f32_e32 v14, v16, v14
	v_mul_f32_e32 v16, 0x3f3d2fb0, v75
	v_mul_f32_e32 v98, 0x3dbcf732, v85
	;; [unrolled: 1-line block ×4, first 2 shown]
	v_add_f32_e32 v12, v14, v12
	v_mul_f32_e32 v121, 0xbf06c442, v89
	v_sub_f32_e32 v16, v16, v90
	v_sub_f32_e32 v86, v100, v86
	v_mul_f32_e32 v101, 0xbf7ba420, v75
	v_add_f32_e32 v12, v12, v24
	v_mul_f32_e32 v14, 0x3ee437d1, v72
	v_mul_f32_e32 v102, 0xbf1a4643, v72
	;; [unrolled: 1-line block ×4, first 2 shown]
	v_add_f32_e32 v12, v12, v22
	v_sub_f32_e32 v14, v14, v83
	v_sub_f32_e32 v83, v102, v84
	v_mul_f32_e32 v105, 0xbf7ba420, v66
	v_mul_f32_e32 v103, 0xbf7ba420, v72
	v_add_f32_e32 v12, v12, v20
	v_mul_f32_e32 v107, 0x3f6eb680, v66
	v_sub_f32_e32 v24, v24, v76
	v_mul_f32_e32 v76, 0xbf06c442, v68
	v_mul_f32_e32 v22, 0xbe8c1d8e, v58
	v_add_f32_e32 v12, v12, v18
	v_mul_f32_e32 v108, 0xbf59a7d5, v58
	v_mul_f32_e32 v106, 0xbe8c1d8e, v66
	;; [unrolled: 1-line block ×3, first 2 shown]
	v_sub_f32_e32 v22, v22, v69
	v_add_f32_e32 v12, v12, v42
	v_mul_f32_e32 v69, 0x3f7ee86f, v60
	v_mul_f32_e32 v20, 0xbf1a4643, v33
	v_mul_f32_e32 v111, 0xbe8c1d8e, v33
	v_mul_f32_e32 v113, 0xbf59a7d5, v33
	v_add_f32_e32 v12, v12, v30
	v_mul_f32_e32 v30, 0xbf763a35, v89
	v_mul_f32_e32 v89, 0xbe3c28d5, v89
	v_sub_f32_e32 v20, v20, v63
	v_mul_f32_e32 v114, 0x3ee437d1, v25
	v_add_f32_e32 v12, v12, v28
	v_sub_f32_e32 v28, v95, v91
	v_sub_f32_e32 v91, v96, v92
	;; [unrolled: 1-line block ×4, first 2 shown]
	v_add_f32_e32 v12, v12, v26
	v_fma_f32 v26, 0xbe8c1d8e, v85, -v30
	v_add_f32_e32 v28, v10, v28
	v_fmac_f32_e32 v30, 0xbe8c1d8e, v85
	v_fma_f32 v94, 0xbf1a4643, v85, -v120
	v_add_f32_e32 v12, v12, v40
	v_fmac_f32_e32 v120, 0xbf1a4643, v85
	v_fma_f32 v40, 0xbf59a7d5, v85, -v121
	v_fmac_f32_e32 v121, 0xbf59a7d5, v85
	v_fma_f32 v95, 0xbf7ba420, v85, -v89
	v_add_f32_e32 v12, v12, v36
	v_add_f32_e32 v36, v10, v91
	v_fmac_f32_e32 v89, 0xbf7ba420, v85
	v_add_f32_e32 v85, v10, v92
	v_add_f32_e32 v26, v10, v26
	;; [unrolled: 1-line block ×6, first 2 shown]
	v_mul_f32_e32 v86, 0x3f763a35, v79
	v_add_f32_e32 v12, v34, v12
	v_add_f32_e32 v38, v10, v93
	;; [unrolled: 1-line block ×6, first 2 shown]
	v_sub_f32_e32 v32, v99, v88
	v_mul_f32_e32 v88, 0x3f06c442, v79
	v_add_f32_e32 v91, v10, v121
	v_add_f32_e32 v92, v10, v95
	;; [unrolled: 1-line block ×4, first 2 shown]
	v_fma_f32 v36, 0xbf59a7d5, v75, -v88
	v_fmac_f32_e32 v88, 0xbf59a7d5, v75
	v_sub_f32_e32 v32, v101, v87
	v_add_f32_e32 v14, v16, v14
	v_add_f32_e32 v16, v28, v83
	v_add_f32_e32 v26, v26, v36
	v_mul_f32_e32 v36, 0x3f65296c, v79
	v_mul_f32_e32 v79, 0x3eb8f4ab, v79
	v_add_f32_e32 v30, v30, v88
	v_add_f32_e32 v32, v38, v32
	v_fma_f32 v38, 0xbe8c1d8e, v75, -v86
	v_sub_f32_e32 v28, v104, v82
	v_fma_f32 v88, 0x3f6eb680, v75, -v79
	v_fmac_f32_e32 v79, 0x3f6eb680, v75
	v_mul_f32_e32 v83, 0xbeb8f4ab, v74
	v_add_f32_e32 v38, v90, v38
	v_add_f32_e32 v28, v32, v28
	v_mul_f32_e32 v32, 0xbf7ee86f, v74
	v_add_f32_e32 v10, v10, v79
	v_mul_f32_e32 v79, 0x3f2c7751, v74
	v_mul_f32_e32 v74, 0xbf06c442, v74
	v_fma_f32 v87, 0x3ee437d1, v75, -v36
	v_fmac_f32_e32 v36, 0x3ee437d1, v75
	v_add_f32_e32 v14, v24, v14
	v_fma_f32 v82, 0x3f3d2fb0, v72, -v79
	v_fmac_f32_e32 v79, 0x3f3d2fb0, v72
	v_sub_f32_e32 v24, v107, v77
	v_fmac_f32_e32 v86, 0xbe8c1d8e, v75
	v_add_f32_e32 v36, v91, v36
	v_add_f32_e32 v26, v26, v82
	v_fma_f32 v82, 0x3f6eb680, v72, -v83
	v_add_f32_e32 v30, v30, v79
	v_fmac_f32_e32 v83, 0x3f6eb680, v72
	v_fma_f32 v79, 0x3dbcf732, v72, -v32
	v_fmac_f32_e32 v32, 0x3dbcf732, v72
	v_add_f32_e32 v38, v38, v82
	v_fma_f32 v82, 0xbf59a7d5, v72, -v74
	v_fmac_f32_e32 v74, 0xbf59a7d5, v72
	v_sub_f32_e32 v72, v105, v80
	v_add_f32_e32 v75, v92, v88
	v_add_f32_e32 v24, v24, v28
	v_mul_f32_e32 v28, 0x3f4c4adb, v68
	v_add_f32_e32 v10, v10, v74
	v_mul_f32_e32 v74, 0xbf65296c, v68
	;; [unrolled: 2-line block ×3, first 2 shown]
	v_add_f32_e32 v32, v36, v32
	v_add_f32_e32 v36, v75, v82
	v_fma_f32 v72, 0x3ee437d1, v66, -v74
	v_fmac_f32_e32 v74, 0x3ee437d1, v66
	v_add_f32_e32 v14, v22, v14
	v_sub_f32_e32 v22, v110, v71
	v_add_f32_e32 v34, v34, v86
	v_add_f32_e32 v26, v72, v26
	v_fma_f32 v72, 0xbf59a7d5, v66, -v76
	v_add_f32_e32 v30, v74, v30
	v_fma_f32 v74, 0xbf1a4643, v66, -v28
	v_fmac_f32_e32 v28, 0xbf1a4643, v66
	v_fmac_f32_e32 v76, 0xbf59a7d5, v66
	v_add_f32_e32 v38, v72, v38
	v_fma_f32 v72, 0x3f3d2fb0, v66, -v68
	v_fmac_f32_e32 v68, 0x3f3d2fb0, v66
	v_add_f32_e32 v28, v28, v32
	v_mul_f32_e32 v66, 0xbe3c28d5, v60
	v_add_f32_e32 v22, v22, v24
	v_add_f32_e32 v32, v72, v36
	v_sub_f32_e32 v36, v108, v70
	v_add_f32_e32 v10, v68, v10
	v_add_f32_e32 v14, v20, v14
	v_sub_f32_e32 v20, v113, v67
	v_add_f32_e32 v40, v40, v87
	v_add_f32_e32 v16, v36, v16
	v_fma_f32 v36, 0xbf7ba420, v58, -v66
	v_fmac_f32_e32 v66, 0xbf7ba420, v58
	v_add_f32_e32 v20, v20, v22
	v_add_f32_e32 v34, v34, v83
	v_mul_f32_e32 v112, 0x3f6eb680, v33
	v_add_f32_e32 v24, v36, v26
	v_mul_f32_e32 v26, 0xbeb8f4ab, v60
	v_fma_f32 v36, 0x3dbcf732, v58, -v69
	v_mul_f32_e32 v60, 0xbf4c4adb, v60
	v_add_f32_e32 v30, v66, v30
	v_mul_f32_e32 v116, 0xbf1a4643, v25
	v_fma_f32 v66, 0x3f6eb680, v58, -v26
	v_add_f32_e32 v36, v36, v38
	v_fmac_f32_e32 v26, 0x3f6eb680, v58
	v_fma_f32 v38, 0xbf1a4643, v58, -v60
	v_fmac_f32_e32 v60, 0xbf1a4643, v58
	v_sub_f32_e32 v81, v103, v81
	v_add_f32_e32 v40, v40, v79
	v_add_f32_e32 v26, v26, v28
	;; [unrolled: 1-line block ×3, first 2 shown]
	v_sub_f32_e32 v32, v111, v65
	v_mul_f32_e32 v38, 0x3f7ee86f, v35
	v_add_f32_e32 v10, v60, v10
	v_mul_f32_e32 v60, 0xbf2c7751, v35
	v_add_f32_e32 v34, v76, v34
	v_add_f32_e32 v16, v32, v16
	v_fma_f32 v32, 0x3dbcf732, v33, -v38
	v_fmac_f32_e32 v38, 0x3dbcf732, v33
	v_fmac_f32_e32 v69, 0x3dbcf732, v58
	v_mul_f32_e32 v109, 0x3f3d2fb0, v58
	v_add_f32_e32 v81, v85, v81
	v_add_f32_e32 v22, v32, v24
	v_mul_f32_e32 v24, 0xbe3c28d5, v35
	v_fma_f32 v32, 0x3f3d2fb0, v33, -v60
	v_mul_f32_e32 v35, 0x3f65296c, v35
	v_add_f32_e32 v30, v38, v30
	v_fmac_f32_e32 v60, 0x3f3d2fb0, v33
	v_fma_f32 v38, 0xbf7ba420, v33, -v24
	v_add_f32_e32 v32, v32, v36
	v_fmac_f32_e32 v24, 0xbf7ba420, v33
	v_fma_f32 v36, 0x3ee437d1, v33, -v35
	v_fmac_f32_e32 v35, 0x3ee437d1, v33
	v_mul_f32_e32 v33, 0xbeb8f4ab, v27
	v_sub_f32_e32 v75, v106, v78
	v_add_f32_e32 v24, v24, v26
	v_add_f32_e32 v26, v36, v28
	v_sub_f32_e32 v28, v114, v57
	v_add_f32_e32 v40, v74, v40
	v_add_f32_e32 v34, v69, v34
	;; [unrolled: 1-line block ×3, first 2 shown]
	v_fma_f32 v35, 0x3f6eb680, v25, -v33
	v_add_f32_e32 v16, v28, v16
	v_sub_f32_e32 v28, v116, v56
	v_mul_f32_e32 v36, 0xbe3c28d5, v27
	v_mul_f32_e32 v18, 0xbf59a7d5, v25
	v_add_f32_e32 v75, v75, v81
	v_sub_f32_e32 v68, v109, v73
	v_add_f32_e32 v40, v66, v40
	v_add_f32_e32 v34, v60, v34
	v_fmac_f32_e32 v33, 0x3f6eb680, v25
	v_add_f32_e32 v20, v28, v20
	v_add_f32_e32 v22, v35, v22
	v_fma_f32 v28, 0xbf7ba420, v25, -v36
	v_mul_f32_e32 v35, 0x3f2c7751, v27
	v_fmac_f32_e32 v36, 0xbf7ba420, v25
	v_mul_f32_e32 v27, 0xbf763a35, v27
	v_mul_f32_e32 v115, 0x3dbcf732, v25
	;; [unrolled: 1-line block ×4, first 2 shown]
	v_add_f32_e32 v68, v68, v75
	v_sub_f32_e32 v58, v112, v64
	v_add_f32_e32 v38, v38, v40
	v_sub_f32_e32 v18, v18, v39
	v_add_f32_e32 v30, v33, v30
	v_add_f32_e32 v28, v28, v32
	v_fma_f32 v32, 0x3f3d2fb0, v25, -v35
	v_add_f32_e32 v33, v36, v34
	v_fma_f32 v34, 0xbe8c1d8e, v25, -v27
	v_fmac_f32_e32 v27, 0xbe8c1d8e, v25
	v_mul_f32_e32 v118, 0xbf59a7d5, v31
	v_add_f32_e32 v58, v58, v68
	v_add_f32_e32 v14, v18, v14
	v_sub_f32_e32 v18, v115, v37
	v_fmac_f32_e32 v35, 0x3f3d2fb0, v25
	v_add_f32_e32 v25, v32, v38
	v_sub_f32_e32 v32, v42, v62
	v_add_f32_e32 v26, v34, v26
	v_add_f32_e32 v10, v27, v10
	v_sub_f32_e32 v27, v117, v61
	v_mul_f32_e32 v34, 0xbf4c4adb, v15
	v_add_f32_e32 v18, v18, v58
	v_add_f32_e32 v14, v32, v14
	v_sub_f32_e32 v32, v118, v41
	v_add_f32_e32 v16, v27, v16
	v_fma_f32 v27, 0xbf1a4643, v31, -v34
	v_mul_f32_e32 v36, 0x3f65296c, v15
	v_mul_f32_e32 v119, 0x3f3d2fb0, v31
	v_add_f32_e32 v18, v32, v18
	v_mul_f32_e32 v32, 0xbf763a35, v15
	v_add_f32_e32 v22, v27, v22
	v_fma_f32 v27, 0x3ee437d1, v31, -v36
	v_fmac_f32_e32 v36, 0x3ee437d1, v31
	v_fmac_f32_e32 v34, 0xbf1a4643, v31
	v_mul_f32_e32 v15, 0x3f7ee86f, v15
	v_add_f32_e32 v24, v35, v24
	v_sub_f32_e32 v35, v119, v59
	v_add_f32_e32 v27, v27, v28
	v_add_f32_e32 v28, v36, v33
	v_fma_f32 v33, 0xbe8c1d8e, v31, -v32
	v_add_f32_e32 v30, v34, v30
	v_fma_f32 v34, 0x3dbcf732, v31, -v15
	v_fmac_f32_e32 v15, 0x3dbcf732, v31
	v_fmac_f32_e32 v32, 0xbe8c1d8e, v31
	v_lshl_add_u32 v31, v55, 6, v29
	v_add_f32_e32 v20, v35, v20
	v_add_f32_e32 v25, v33, v25
	;; [unrolled: 1-line block ×5, first 2 shown]
	ds_write2_b32 v31, v12, v14 offset1:1
	ds_write2_b32 v31, v16, v18 offset0:2 offset1:3
	ds_write2_b32 v31, v20, v22 offset0:4 offset1:5
	ds_write2_b32 v31, v27, v25 offset0:6 offset1:7
	ds_write2_b32 v31, v26, v10 offset0:8 offset1:9
	ds_write2_b32 v31, v24, v28 offset0:10 offset1:11
	ds_write2_b32 v31, v30, v8 offset0:12 offset1:13
	ds_write2_b32 v31, v9, v6 offset0:14 offset1:15
	ds_write_b32 v31, v7 offset:64
.LBB0_15:
	s_or_b32 exec_lo, exec_lo, s1
	v_and_b32_e32 v10, 0xff, v55
	v_mov_b32_e32 v14, 12
	s_waitcnt lgkmcnt(0)
	s_barrier
	buffer_gl0_inv
	v_mul_lo_u16 v10, 0xf1, v10
	v_mov_b32_e32 v26, 0x374
	v_mov_b32_e32 v27, 2
	v_add_nc_u32_e32 v28, 0x680, v29
	v_add_nc_u32_e32 v32, 0xd80, v29
	v_lshrrev_b16 v10, 12, v10
	v_add_nc_u32_e32 v34, 0x1480, v29
	v_cmp_gt_u32_e64 s0, 0x44, v55
	v_mul_lo_u16 v12, v10, 17
	v_mul_u32_u24_sdwa v10, v10, v26 dst_sel:DWORD dst_unused:UNUSED_PAD src0_sel:WORD_0 src1_sel:DWORD
	v_sub_nc_u16 v18, v55, v12
	v_mul_u32_u24_sdwa v12, v18, v14 dst_sel:DWORD dst_unused:UNUSED_PAD src0_sel:BYTE_0 src1_sel:DWORD
	v_lshlrev_b32_sdwa v18, v27, v18 dst_sel:DWORD dst_unused:UNUSED_PAD src0_sel:DWORD src1_sel:BYTE_0
	v_lshlrev_b32_e32 v12, 3, v12
	v_add3_u32 v26, 0, v10, v18
	s_clause 0x5
	global_load_dwordx4 v[36:39], v12, s[8:9]
	global_load_dwordx4 v[62:65], v12, s[8:9] offset:16
	global_load_dwordx4 v[66:69], v12, s[8:9] offset:32
	;; [unrolled: 1-line block ×5, first 2 shown]
	ds_read2_b32 v[14:15], v29 offset1:153
	ds_read2_b32 v[20:21], v21 offset0:50 offset1:203
	ds_read2_b32 v[22:23], v23 offset0:100 offset1:253
	;; [unrolled: 1-line block ×5, first 2 shown]
	ds_read_b32 v82, v29 offset:7344
	s_waitcnt vmcnt(0) lgkmcnt(0)
	s_barrier
	buffer_gl0_inv
	v_mul_f32_e32 v59, v15, v37
	v_mul_f32_e32 v10, v44, v37
	;; [unrolled: 1-line block ×12, first 2 shown]
	v_fmac_f32_e32 v59, v44, v36
	v_mul_f32_e32 v37, v22, v65
	v_mul_f32_e32 v35, v51, v65
	v_mul_f32_e32 v30, v23, v67
	v_mul_f32_e32 v41, v52, v67
	v_mul_f32_e32 v19, v13, v71
	v_mul_f32_e32 v65, v50, v71
	v_mul_f32_e32 v67, v47, v73
	v_mul_f32_e32 v56, v24, v77
	v_mul_f32_e32 v71, v45, v77
	v_mul_f32_e32 v58, v25, v79
	v_mul_f32_e32 v73, v46, v79
	v_mul_f32_e32 v60, v82, v81
	v_fma_f32 v61, v15, v36, -v10
	v_fmac_f32_e32 v57, v53, v38
	v_fmac_f32_e32 v31, v47, v72
	v_fma_f32 v47, v82, v80, -v75
	v_add_f32_e32 v10, v43, v59
	v_fma_f32 v53, v20, v38, -v27
	v_fmac_f32_e32 v42, v54, v62
	v_fma_f32 v44, v21, v62, -v33
	v_fma_f32 v40, v22, v64, -v35
	;; [unrolled: 1-line block ×7, first 2 shown]
	v_fmac_f32_e32 v56, v45, v76
	v_fma_f32 v45, v24, v76, -v71
	v_fmac_f32_e32 v60, v11, v80
	v_fmac_f32_e32 v58, v46, v78
	v_fma_f32 v46, v25, v78, -v73
	v_sub_f32_e32 v12, v61, v47
	v_add_f32_e32 v10, v10, v57
	v_fmac_f32_e32 v37, v51, v64
	v_fmac_f32_e32 v30, v52, v66
	;; [unrolled: 1-line block ×5, first 2 shown]
	v_add_f32_e32 v11, v59, v60
	v_sub_f32_e32 v16, v53, v46
	v_sub_f32_e32 v20, v44, v45
	;; [unrolled: 1-line block ×5, first 2 shown]
	v_mul_f32_e32 v38, 0xbeedf032, v12
	v_mul_f32_e32 v48, 0xbf52af12, v12
	;; [unrolled: 1-line block ×3, first 2 shown]
	v_add_f32_e32 v10, v10, v42
	v_add_f32_e32 v13, v57, v58
	;; [unrolled: 1-line block ×6, first 2 shown]
	v_mul_f32_e32 v50, 0xbf6f5d39, v12
	v_mul_f32_e32 v51, 0xbf29c268, v12
	;; [unrolled: 1-line block ×33, first 2 shown]
	v_fmamk_f32 v85, v11, 0x3f62ad3f, v38
	v_fma_f32 v38, 0x3f62ad3f, v11, -v38
	v_fmamk_f32 v86, v11, 0x3f116cb1, v48
	v_fma_f32 v48, 0x3f116cb1, v11, -v48
	v_fmamk_f32 v87, v11, 0x3df6dbef, v49
	v_add_f32_e32 v10, v10, v37
	v_fma_f32 v49, 0x3df6dbef, v11, -v49
	v_fmamk_f32 v88, v11, 0xbeb58ec6, v50
	v_fma_f32 v50, 0xbeb58ec6, v11, -v50
	v_fmamk_f32 v89, v11, 0xbf3f9e67, v51
	;; [unrolled: 2-line block ×33, first 2 shown]
	v_fma_f32 v25, 0x3df6dbef, v25, -v36
	v_add_f32_e32 v36, v43, v85
	v_add_f32_e32 v38, v43, v38
	v_add_f32_e32 v85, v43, v86
	v_add_f32_e32 v48, v43, v48
	v_add_f32_e32 v86, v43, v87
	v_add_f32_e32 v10, v10, v30
	v_add_f32_e32 v49, v43, v49
	v_add_f32_e32 v87, v43, v88
	v_add_f32_e32 v50, v43, v50
	v_add_f32_e32 v88, v43, v89
	v_add_f32_e32 v51, v43, v51
	v_add_f32_e32 v89, v43, v90
	v_add_f32_e32 v11, v43, v11
	v_add_f32_e32 v12, v12, v36
	v_add_f32_e32 v36, v52, v38
	v_add_f32_e32 v38, v91, v85
	v_add_f32_e32 v43, v54, v48
	v_add_f32_e32 v48, v92, v86
	v_add_f32_e32 v10, v10, v18
	v_add_f32_e32 v11, v13, v11
	v_add_f32_e32 v12, v16, v12
	v_add_f32_e32 v13, v65, v36
	v_add_f32_e32 v16, v96, v38
	v_add_f32_e32 v36, v66, v43
	v_add_f32_e32 v38, v97, v48
	v_add_f32_e32 v10, v10, v19
	v_add_f32_e32 v49, v62, v49
	v_add_f32_e32 v52, v93, v87
	v_add_f32_e32 v50, v63, v50
	v_add_f32_e32 v54, v94, v88
	v_add_f32_e32 v62, v95, v89
	v_add_f32_e32 v51, v64, v51
	v_add_f32_e32 v11, v17, v11
	v_add_f32_e32 v12, v20, v12
	v_add_f32_e32 v17, v71, v36
	v_add_f32_e32 v20, v102, v38
	v_add_f32_e32 v10, v10, v31
	v_add_f32_e32 v43, v67, v49
	v_add_f32_e32 v48, v98, v52
	v_add_f32_e32 v49, v68, v50
	v_add_f32_e32 v50, v99, v54
	v_add_f32_e32 v52, v100, v62
	v_add_f32_e32 v51, v69, v51
	v_add_f32_e32 v16, v101, v16
	v_add_f32_e32 v12, v22, v12
	v_add_f32_e32 v17, v76, v17
	v_add_f32_e32 v20, v107, v20
	v_add_f32_e32 v10, v10, v39
	v_add_f32_e32 v36, v72, v43
	v_add_f32_e32 v38, v103, v48
	v_add_f32_e32 v43, v73, v49
	v_add_f32_e32 v48, v104, v50
	v_add_f32_e32 v50, v105, v52
	v_add_f32_e32 v11, v21, v11
	v_add_f32_e32 v49, v74, v51
	v_add_f32_e32 v13, v70, v13
	v_add_f32_e32 v16, v106, v16
	v_add_f32_e32 v24, v24, v12
	v_add_f32_e32 v12, v81, v17
	v_add_f32_e32 v17, v112, v20
	v_add_f32_e32 v20, v10, v56
	v_add_f32_e32 v21, v77, v36
	v_add_f32_e32 v22, v108, v38
	v_add_f32_e32 v36, v78, v43
	v_add_f32_e32 v38, v109, v48
	v_add_f32_e32 v48, v110, v50
	v_add_f32_e32 v23, v23, v11
	v_add_f32_e32 v43, v79, v49
	v_add_f32_e32 v13, v75, v13
	v_add_f32_e32 v16, v111, v16
	v_add_f32_e32 v20, v20, v58
	v_add_f32_e32 v11, v82, v21
	v_add_f32_e32 v21, v113, v22
	v_add_f32_e32 v10, v83, v36
	v_add_f32_e32 v22, v114, v38
	v_add_f32_e32 v36, v115, v48
	v_add_f32_e32 v23, v25, v23
	v_add_f32_e32 v25, v84, v43
	v_add_f32_e32 v13, v80, v13
	ds_write2_b32 v26, v16, v17 offset0:34 offset1:51
	ds_write2_b32 v26, v21, v22 offset0:68 offset1:85
	v_add_f32_e32 v16, v20, v60
	ds_write2_b32 v26, v36, v23 offset0:102 offset1:119
	ds_write2_b32 v26, v25, v10 offset0:136 offset1:153
	;; [unrolled: 1-line block ×3, first 2 shown]
	ds_write_b32 v26, v13 offset:816
	ds_write2_b32 v26, v16, v24 offset1:17
	s_waitcnt lgkmcnt(0)
	s_barrier
	buffer_gl0_inv
	ds_read2_b32 v[16:17], v29 offset1:221
	ds_read2_b32 v[20:21], v28 offset0:26 offset1:247
	ds_read2_b32 v[22:23], v32 offset0:20 offset1:241
	;; [unrolled: 1-line block ×3, first 2 shown]
	ds_read_b32 v38, v29 offset:7072
                                        ; implicit-def: $vgpr36
	s_and_saveexec_b32 s1, s0
	s_cbranch_execz .LBB0_17
; %bb.16:
	v_add_nc_u32_e32 v0, 0x200, v29
	v_add_nc_u32_e32 v1, 0x900, v29
	;; [unrolled: 1-line block ×4, first 2 shown]
	ds_read2_b32 v[10:11], v0 offset0:25 offset1:246
	ds_read2_b32 v[12:13], v1 offset0:19 offset1:240
	;; [unrolled: 1-line block ×4, first 2 shown]
	ds_read_b32 v36, v29 offset:7684
.LBB0_17:
	s_or_b32 exec_lo, exec_lo, s1
	v_add_f32_e32 v43, v14, v61
	v_add_f32_e32 v48, v61, v47
	v_sub_f32_e32 v49, v59, v60
	v_add_f32_e32 v50, v53, v46
	v_sub_f32_e32 v51, v57, v58
	v_add_f32_e32 v43, v43, v53
	v_mul_f32_e32 v53, 0x3f116cb1, v48
	v_mul_f32_e32 v52, 0x3f62ad3f, v48
	;; [unrolled: 1-line block ×4, first 2 shown]
	v_add_f32_e32 v43, v43, v44
	v_fmamk_f32 v64, v49, 0x3f52af12, v53
	v_fmac_f32_e32 v53, 0xbf52af12, v49
	v_mul_f32_e32 v57, 0xbeb58ec6, v48
	v_mul_f32_e32 v58, 0xbf3f9e67, v48
	v_add_f32_e32 v43, v43, v40
	v_mul_f32_e32 v48, 0xbf788fa5, v48
	v_mul_f32_e32 v59, 0x3f116cb1, v50
	v_fmamk_f32 v63, v49, 0x3eedf032, v52
	v_fmac_f32_e32 v52, 0xbeedf032, v49
	v_add_f32_e32 v43, v43, v33
	v_fmamk_f32 v69, v51, 0x3f6f5d39, v60
	v_fmac_f32_e32 v60, 0xbf6f5d39, v51
	v_add_f32_e32 v53, v14, v53
	v_mul_f32_e32 v61, 0xbf788fa5, v50
	v_add_f32_e32 v43, v43, v15
	v_fmamk_f32 v65, v49, 0x3f7e222b, v54
	v_fmac_f32_e32 v54, 0xbf7e222b, v49
	v_fmamk_f32 v66, v49, 0x3f6f5d39, v57
	v_fmac_f32_e32 v57, 0xbf6f5d39, v49
	v_add_f32_e32 v43, v43, v27
	v_fmamk_f32 v67, v49, 0x3f29c268, v58
	v_fmac_f32_e32 v58, 0xbf29c268, v49
	v_fmamk_f32 v68, v49, 0x3e750f2a, v48
	v_fmac_f32_e32 v48, 0xbe750f2a, v49
	v_add_f32_e32 v43, v43, v35
	v_fmamk_f32 v49, v51, 0x3f52af12, v59
	v_fmac_f32_e32 v59, 0xbf52af12, v51
	v_add_f32_e32 v63, v14, v63
	v_add_f32_e32 v52, v14, v52
	;; [unrolled: 1-line block ×4, first 2 shown]
	v_mul_f32_e32 v60, 0x3df6dbef, v50
	v_add_f32_e32 v44, v44, v45
	v_mul_f32_e32 v62, 0xbf3f9e67, v50
	v_add_f32_e32 v43, v43, v45
	v_add_f32_e32 v64, v14, v64
	v_add_f32_e32 v65, v14, v65
	v_add_f32_e32 v54, v14, v54
	v_add_f32_e32 v66, v14, v66
	v_add_f32_e32 v57, v14, v57
	v_add_f32_e32 v67, v14, v67
	v_add_f32_e32 v58, v14, v58
	v_add_f32_e32 v43, v43, v46
	v_add_f32_e32 v46, v14, v68
	v_add_f32_e32 v14, v14, v48
	v_add_f32_e32 v48, v49, v63
	v_add_f32_e32 v49, v59, v52
	v_fmamk_f32 v52, v51, 0x3e750f2a, v61
	v_fmac_f32_e32 v61, 0xbe750f2a, v51
	v_fmamk_f32 v45, v51, 0xbf7e222b, v60
	v_mul_f32_e32 v50, 0x3f62ad3f, v50
	v_fmac_f32_e32 v60, 0x3f7e222b, v51
	v_sub_f32_e32 v42, v42, v56
	v_mul_f32_e32 v56, 0x3df6dbef, v44
	v_fmamk_f32 v59, v51, 0xbf29c268, v62
	v_fmac_f32_e32 v62, 0x3f29c268, v51
	v_add_f32_e32 v54, v61, v54
	v_fmamk_f32 v61, v51, 0xbeedf032, v50
	v_fmac_f32_e32 v50, 0x3eedf032, v51
	v_add_f32_e32 v51, v60, v58
	v_fmamk_f32 v58, v42, 0x3f7e222b, v56
	v_mul_f32_e32 v60, 0xbf788fa5, v44
	v_add_f32_e32 v43, v43, v47
	v_add_f32_e32 v47, v69, v64
	;; [unrolled: 1-line block ×4, first 2 shown]
	v_fmamk_f32 v50, v42, 0x3e750f2a, v60
	v_mul_f32_e32 v58, 0xbeb58ec6, v44
	v_add_f32_e32 v52, v52, v65
	v_fmac_f32_e32 v56, 0xbf7e222b, v42
	v_add_f32_e32 v40, v40, v41
	v_add_f32_e32 v47, v50, v47
	v_fmamk_f32 v50, v42, 0xbf6f5d39, v58
	v_add_f32_e32 v45, v45, v67
	v_fmac_f32_e32 v60, 0xbe750f2a, v42
	v_add_f32_e32 v49, v56, v49
	v_mul_f32_e32 v56, 0x3f62ad3f, v44
	v_add_f32_e32 v50, v50, v52
	v_mul_f32_e32 v52, 0x3f116cb1, v44
	v_mul_f32_e32 v44, 0xbf3f9e67, v44
	v_sub_f32_e32 v37, v37, v39
	v_mul_f32_e32 v39, 0xbeb58ec6, v40
	v_add_f32_e32 v46, v61, v46
	v_fmamk_f32 v41, v42, 0x3f52af12, v52
	v_fmac_f32_e32 v52, 0xbf52af12, v42
	v_add_f32_e32 v53, v60, v53
	v_fmac_f32_e32 v58, 0x3f6f5d39, v42
	v_fmamk_f32 v60, v42, 0xbeedf032, v56
	v_fmac_f32_e32 v56, 0x3eedf032, v42
	v_add_f32_e32 v41, v41, v45
	v_fmamk_f32 v45, v42, 0x3f29c268, v44
	v_fmac_f32_e32 v44, 0xbf29c268, v42
	v_add_f32_e32 v42, v52, v51
	v_fmamk_f32 v51, v37, 0x3f6f5d39, v39
	v_mul_f32_e32 v52, 0xbf3f9e67, v40
	v_add_f32_e32 v45, v45, v46
	v_add_f32_e32 v14, v44, v14
	v_fmac_f32_e32 v39, 0xbf6f5d39, v37
	v_add_f32_e32 v44, v51, v48
	v_fmamk_f32 v46, v37, 0xbf29c268, v52
	v_mul_f32_e32 v48, 0x3f62ad3f, v40
	v_add_f32_e32 v33, v33, v35
	v_fmac_f32_e32 v52, 0x3f29c268, v37
	v_add_f32_e32 v39, v39, v49
	v_add_f32_e32 v46, v46, v47
	v_fmamk_f32 v47, v37, 0xbeedf032, v48
	v_mul_f32_e32 v49, 0x3df6dbef, v40
	v_sub_f32_e32 v30, v30, v31
	v_mul_f32_e32 v31, 0xbf3f9e67, v33
	v_add_f32_e32 v51, v52, v53
	v_add_f32_e32 v47, v47, v50
	v_mul_f32_e32 v50, 0xbf788fa5, v40
	v_mul_f32_e32 v40, 0x3f116cb1, v40
	v_fmac_f32_e32 v48, 0x3eedf032, v37
	v_fmamk_f32 v52, v37, 0x3f7e222b, v49
	v_fmac_f32_e32 v49, 0xbf7e222b, v37
	v_fmamk_f32 v35, v37, 0xbe750f2a, v50
	v_fmac_f32_e32 v50, 0x3e750f2a, v37
	v_add_f32_e32 v57, v62, v57
	v_add_f32_e32 v27, v15, v27
	v_mul_f32_e32 v15, 0xbeb58ec6, v33
	v_add_f32_e32 v35, v35, v41
	v_fmamk_f32 v41, v37, 0xbf52af12, v40
	v_fmac_f32_e32 v40, 0x3f52af12, v37
	v_fmamk_f32 v37, v30, 0x3f29c268, v31
	v_add_f32_e32 v42, v50, v42
	v_mul_f32_e32 v50, 0x3df6dbef, v33
	v_fmac_f32_e32 v31, 0xbf29c268, v30
	v_add_f32_e32 v56, v56, v57
	v_add_f32_e32 v37, v37, v44
	v_mul_f32_e32 v44, 0x3f116cb1, v33
	v_add_f32_e32 v41, v41, v45
	v_add_f32_e32 v14, v40, v14
	v_fmamk_f32 v40, v30, 0xbf7e222b, v50
	v_add_f32_e32 v31, v31, v39
	v_fmac_f32_e32 v50, 0x3f7e222b, v30
	v_mul_f32_e32 v39, 0xbf788fa5, v33
	v_fmamk_f32 v45, v30, 0x3f52af12, v44
	v_add_f32_e32 v49, v49, v56
	v_add_f32_e32 v40, v40, v46
	;; [unrolled: 1-line block ×3, first 2 shown]
	v_fmamk_f32 v50, v30, 0xbe750f2a, v39
	v_fmac_f32_e32 v39, 0x3e750f2a, v30
	v_add_f32_e32 v45, v45, v47
	v_mul_f32_e32 v47, 0x3f62ad3f, v33
	v_add_f32_e32 v59, v59, v66
	v_add_f32_e32 v54, v58, v54
	;; [unrolled: 1-line block ×3, first 2 shown]
	v_sub_f32_e32 v49, v18, v19
	v_fmamk_f32 v33, v30, 0xbeedf032, v47
	v_fmac_f32_e32 v47, 0x3eedf032, v30
	v_mul_f32_e32 v18, 0xbf788fa5, v27
	v_fmamk_f32 v19, v30, 0x3f6f5d39, v15
	v_fmac_f32_e32 v15, 0xbf6f5d39, v30
	v_fmac_f32_e32 v44, 0xbf52af12, v30
	v_add_f32_e32 v33, v33, v35
	v_add_f32_e32 v35, v47, v42
	v_fmamk_f32 v30, v49, 0x3e750f2a, v18
	v_add_f32_e32 v47, v15, v14
	v_mul_f32_e32 v14, 0xbf3f9e67, v27
	v_add_f32_e32 v58, v60, v59
	v_add_f32_e32 v48, v48, v54
	v_mul_f32_e32 v42, 0x3f62ad3f, v27
	v_fmac_f32_e32 v18, 0xbe750f2a, v49
	v_add_f32_e32 v30, v30, v37
	v_fmamk_f32 v37, v49, 0x3f29c268, v14
	v_add_f32_e32 v52, v52, v58
	v_add_f32_e32 v44, v44, v48
	;; [unrolled: 1-line block ×3, first 2 shown]
	v_fmamk_f32 v15, v49, 0xbeedf032, v42
	v_add_f32_e32 v19, v18, v31
	v_fmac_f32_e32 v42, 0x3eedf032, v49
	v_mul_f32_e32 v31, 0x3f116cb1, v27
	v_fmac_f32_e32 v14, 0xbf29c268, v49
	v_add_f32_e32 v37, v37, v45
	v_mul_f32_e32 v45, 0xbeb58ec6, v27
	v_mul_f32_e32 v27, 0x3df6dbef, v27
	v_add_f32_e32 v48, v50, v52
	v_add_f32_e32 v40, v15, v40
	;; [unrolled: 1-line block ×3, first 2 shown]
	v_fmamk_f32 v42, v49, 0xbf52af12, v31
	v_add_f32_e32 v15, v14, v44
	v_fmac_f32_e32 v31, 0x3f52af12, v49
	v_fmamk_f32 v44, v49, 0x3f6f5d39, v45
	v_fmac_f32_e32 v45, 0xbf6f5d39, v49
	v_fmamk_f32 v46, v49, 0xbf7e222b, v27
	v_fmac_f32_e32 v27, 0x3f7e222b, v49
	v_add_f32_e32 v42, v42, v48
	v_add_f32_e32 v14, v31, v39
	;; [unrolled: 1-line block ×6, first 2 shown]
	s_waitcnt lgkmcnt(0)
	s_barrier
	buffer_gl0_inv
	ds_write2_b32 v26, v43, v30 offset1:17
	ds_write2_b32 v26, v40, v37 offset0:34 offset1:51
	ds_write2_b32 v26, v42, v31 offset0:68 offset1:85
	;; [unrolled: 1-line block ×5, first 2 shown]
	ds_write_b32 v26, v19 offset:816
	s_waitcnt lgkmcnt(0)
	s_barrier
	buffer_gl0_inv
	ds_read2_b32 v[26:27], v29 offset1:221
	ds_read2_b32 v[30:31], v28 offset0:26 offset1:247
	ds_read2_b32 v[32:33], v32 offset0:20 offset1:241
	;; [unrolled: 1-line block ×3, first 2 shown]
	ds_read_b32 v39, v29 offset:7072
                                        ; implicit-def: $vgpr37
	s_and_saveexec_b32 s1, s0
	s_cbranch_execz .LBB0_19
; %bb.18:
	v_add_nc_u32_e32 v6, 0x200, v29
	v_add_nc_u32_e32 v7, 0x900, v29
	;; [unrolled: 1-line block ×4, first 2 shown]
	ds_read2_b32 v[14:15], v6 offset0:25 offset1:246
	ds_read2_b32 v[18:19], v7 offset0:19 offset1:240
	;; [unrolled: 1-line block ×4, first 2 shown]
	ds_read_b32 v37, v29 offset:7684
.LBB0_19:
	s_or_b32 exec_lo, exec_lo, s1
	s_and_saveexec_b32 s1, vcc_lo
	s_cbranch_execz .LBB0_22
; %bb.20:
	v_lshlrev_b32_e32 v28, 3, v55
	v_mov_b32_e32 v29, 0
	v_add_nc_u32_e32 v76, 0xdd, v55
	v_add_nc_u32_e32 v77, 0x1ba, v55
	;; [unrolled: 1-line block ×4, first 2 shown]
	v_lshlrev_b64 v[40:41], 3, v[28:29]
	v_add_nc_u32_e32 v80, 0x451, v55
	v_add_nc_u32_e32 v81, 0x52e, v55
	;; [unrolled: 1-line block ×3, first 2 shown]
	v_mad_u64_u32 v[60:61], null, s2, v76, 0
	v_add_co_u32 v52, vcc_lo, s8, v40
	v_add_co_ci_u32_e32 v53, vcc_lo, s9, v41, vcc_lo
	v_add_nc_u32_e32 v82, 0x60b, v55
	v_mad_u64_u32 v[62:63], null, s2, v77, 0
	s_clause 0x3
	global_load_dwordx4 v[40:43], v[52:53], off offset:1632
	global_load_dwordx4 v[44:47], v[52:53], off offset:1680
	;; [unrolled: 1-line block ×4, first 2 shown]
	v_mad_u64_u32 v[52:53], null, s2, v55, 0
	v_mad_u64_u32 v[64:65], null, s2, v78, 0
	v_mad_u64_u32 v[66:67], null, s2, v79, 0
	v_mad_u64_u32 v[68:69], null, s2, v80, 0
	v_mov_b32_e32 v28, v53
	v_mad_u64_u32 v[70:71], null, s2, v81, 0
	v_mad_u64_u32 v[74:75], null, s2, v83, 0
	;; [unrolled: 1-line block ×4, first 2 shown]
	v_mov_b32_e32 v28, v61
	v_mov_b32_e32 v54, v63
	;; [unrolled: 1-line block ×7, first 2 shown]
	v_mad_u64_u32 v[75:76], null, s3, v76, v[28:29]
	v_mov_b32_e32 v69, v73
	v_mad_u64_u32 v[76:77], null, s3, v77, v[54:55]
	v_mad_u64_u32 v[77:78], null, s3, v78, v[61:62]
	;; [unrolled: 1-line block ×7, first 2 shown]
	v_mov_b32_e32 v67, v78
	v_mov_b32_e32 v69, v79
	;; [unrolled: 1-line block ×7, first 2 shown]
	v_lshlrev_b64 v[52:53], 3, v[52:53]
	v_add_co_u32 v4, vcc_lo, s12, v4
	v_add_co_ci_u32_e32 v5, vcc_lo, s13, v5, vcc_lo
	v_lshlrev_b64 v[60:61], 3, v[60:61]
	v_lshlrev_b64 v[62:63], 3, v[62:63]
	v_add_co_u32 v52, vcc_lo, v4, v52
	v_add_co_ci_u32_e32 v53, vcc_lo, v5, v53, vcc_lo
	v_lshlrev_b64 v[64:65], 3, v[64:65]
	v_add_co_u32 v60, vcc_lo, v4, v60
	v_add_co_ci_u32_e32 v61, vcc_lo, v5, v61, vcc_lo
	;; [unrolled: 3-line block ×4, first 2 shown]
	v_lshlrev_b64 v[70:71], 3, v[70:71]
	v_add_co_u32 v66, vcc_lo, v4, v66
	v_mov_b32_e32 v75, v82
	v_add_co_ci_u32_e32 v67, vcc_lo, v5, v67, vcc_lo
	v_lshlrev_b64 v[72:73], 3, v[72:73]
	v_add_co_u32 v68, vcc_lo, v4, v68
	v_add_co_ci_u32_e32 v69, vcc_lo, v5, v69, vcc_lo
	v_lshlrev_b64 v[74:75], 3, v[74:75]
	v_add_co_u32 v70, vcc_lo, v4, v70
	v_add_co_ci_u32_e32 v71, vcc_lo, v5, v71, vcc_lo
	v_add_co_u32 v72, vcc_lo, v4, v72
	v_add_co_ci_u32_e32 v73, vcc_lo, v5, v73, vcc_lo
	s_waitcnt vmcnt(3)
	v_mul_f32_e32 v28, v17, v40
	s_waitcnt vmcnt(2)
	v_mul_f32_e32 v54, v38, v46
	v_mul_f32_e32 v78, v20, v42
	;; [unrolled: 1-line block ×3, first 2 shown]
	s_waitcnt vmcnt(1)
	v_mul_f32_e32 v80, v22, v50
	s_waitcnt vmcnt(0)
	v_mul_f32_e32 v81, v23, v56
	v_mul_f32_e32 v25, v25, v45
	;; [unrolled: 1-line block ×11, first 2 shown]
	s_waitcnt lgkmcnt(4)
	v_fmac_f32_e32 v28, v27, v41
	s_waitcnt lgkmcnt(0)
	v_fmac_f32_e32 v54, v39, v47
	v_fmac_f32_e32 v78, v30, v43
	;; [unrolled: 1-line block ×3, first 2 shown]
	v_fma_f32 v25, v35, v44, -v25
	v_fma_f32 v20, v30, v42, -v20
	;; [unrolled: 1-line block ×6, first 2 shown]
	v_fmac_f32_e32 v76, v31, v49
	v_fmac_f32_e32 v77, v34, v59
	v_fma_f32 v24, v34, v58, -v24
	v_fma_f32 v21, v31, v48, -v21
	v_sub_f32_e32 v27, v28, v54
	v_add_f32_e32 v34, v20, v25
	v_add_f32_e32 v39, v17, v30
	v_sub_f32_e32 v17, v17, v30
	v_sub_f32_e32 v30, v22, v23
	v_add_f32_e32 v41, v78, v79
	v_add_f32_e32 v28, v28, v54
	;; [unrolled: 1-line block ×3, first 2 shown]
	v_sub_f32_e32 v25, v20, v25
	v_add_f32_e32 v42, v76, v77
	v_mul_f32_e32 v45, 0x3f7c1c5c, v30
	v_add_f32_e32 v47, v39, v34
	v_add_f32_e32 v48, v28, v41
	v_fmac_f32_e32 v80, v32, v51
	v_sub_f32_e32 v31, v76, v77
	v_sub_f32_e32 v24, v21, v24
	v_fma_f32 v45, 0xbf248dbb, v25, -v45
	v_add_f32_e32 v76, v38, v47
	v_add_f32_e32 v77, v42, v48
	v_fmac_f32_e32 v81, v33, v57
	v_add_f32_e32 v35, v22, v23
	v_mul_f32_e32 v56, 0xbf248dbb, v30
	v_mul_f32_e32 v59, 0x3f7c1c5c, v25
	v_fmac_f32_e32 v45, 0x3f5db3d7, v24
	v_add_f32_e32 v22, v22, v76
	v_add_f32_e32 v76, v80, v77
	v_sub_f32_e32 v33, v80, v81
	v_sub_f32_e32 v32, v78, v79
	v_add_f32_e32 v40, v80, v81
	v_add_f32_e32 v50, v17, v30
	v_fmac_f32_e32 v56, 0x3f7c1c5c, v17
	v_fmac_f32_e32 v59, 0x3f248dbb, v17
	;; [unrolled: 1-line block ×3, first 2 shown]
	v_add_f32_e32 v17, v23, v22
	v_add_f32_e32 v22, v81, v76
	v_mul_f32_e32 v43, 0x3f7c1c5c, v33
	v_fmamk_f32 v44, v34, 0x3f441b7d, v26
	v_fmamk_f32 v46, v41, 0x3f441b7d, v16
	v_add_f32_e32 v21, v26, v38
	v_add_f32_e32 v20, v16, v42
	v_fmamk_f32 v54, v35, 0x3f441b7d, v26
	v_fmamk_f32 v57, v40, 0x3f441b7d, v16
	v_mul_f32_e32 v58, 0x3f7c1c5c, v32
	v_add_f32_e32 v23, v26, v17
	v_add_f32_e32 v22, v16, v22
	v_fmac_f32_e32 v26, 0x3f441b7d, v39
	v_fmac_f32_e32 v16, 0x3f441b7d, v28
	v_mul_f32_e32 v51, 0xbf248dbb, v33
	v_fma_f32 v43, 0xbf248dbb, v32, -v43
	v_fmac_f32_e32 v44, 0x3e31d0d4, v35
	v_fmac_f32_e32 v46, 0x3e31d0d4, v40
	;; [unrolled: 1-line block ×9, first 2 shown]
	v_fmac_f32_e32 v44, -0.5, v38
	v_fmac_f32_e32 v46, -0.5, v42
	v_add_f32_e32 v49, v27, v33
	v_add_f32_e32 v47, v47, v35
	;; [unrolled: 1-line block ×3, first 2 shown]
	v_fmac_f32_e32 v58, 0x3f5db3d7, v31
	v_fmac_f32_e32 v59, 0x3f5db3d7, v24
	v_fmac_f32_e32 v26, -0.5, v38
	v_fmac_f32_e32 v16, -0.5, v42
	v_fmac_f32_e32 v51, 0xbf5db3d7, v31
	v_fmac_f32_e32 v54, -0.5, v38
	v_fmac_f32_e32 v56, 0xbf5db3d7, v24
	v_fmac_f32_e32 v57, -0.5, v42
	v_fmac_f32_e32 v43, 0x3eaf1d44, v27
	v_fmac_f32_e32 v44, 0xbf708fb2, v39
	v_fmac_f32_e32 v46, 0xbf708fb2, v28
	v_sub_f32_e32 v49, v49, v32
	v_sub_f32_e32 v50, v50, v25
	v_fmac_f32_e32 v21, -0.5, v47
	v_fmac_f32_e32 v20, -0.5, v48
	v_fmac_f32_e32 v58, 0x3eaf1d44, v33
	v_fmac_f32_e32 v59, 0x3eaf1d44, v30
	;; [unrolled: 1-line block ×8, first 2 shown]
	v_add_f32_e32 v25, v43, v44
	v_sub_f32_e32 v24, v46, v45
	v_mul_f32_e32 v77, 0x3f5db3d7, v49
	v_mul_f32_e32 v47, 0x3f5db3d7, v50
	v_fmac_f32_e32 v21, 0x3f5db3d7, v49
	v_fmac_f32_e32 v20, 0xbf5db3d7, v50
	v_add_f32_e32 v17, v58, v26
	v_sub_f32_e32 v16, v16, v59
	v_add_f32_e32 v31, v51, v54
	v_sub_f32_e32 v30, v57, v56
	v_fma_f32 v33, -2.0, v43, v25
	v_fma_f32 v32, 2.0, v45, v24
	v_fma_f32 v28, -2.0, v77, v21
	v_fma_f32 v27, 2.0, v47, v20
	global_store_dwordx2 v[52:53], v[22:23], off
	v_fma_f32 v22, 2.0, v59, v16
	global_store_dwordx2 v[60:61], v[16:17], off
	global_store_dwordx2 v[62:63], v[30:31], off
	;; [unrolled: 1-line block ×3, first 2 shown]
	v_add_co_u32 v16, vcc_lo, v4, v74
	v_fma_f32 v35, -2.0, v51, v31
	v_fma_f32 v34, 2.0, v56, v30
	v_fma_f32 v23, -2.0, v58, v17
	v_add_co_ci_u32_e32 v17, vcc_lo, v5, v75, vcc_lo
	global_store_dwordx2 v[66:67], v[24:25], off
	global_store_dwordx2 v[68:69], v[32:33], off
	;; [unrolled: 1-line block ×5, first 2 shown]
	s_and_b32 exec_lo, exec_lo, s0
	s_cbranch_execz .LBB0_22
; %bb.21:
	v_add_nc_u32_e32 v54, 0x99, v55
	v_add_nc_u32_e32 v16, 0xffffffbc, v55
	;; [unrolled: 1-line block ×6, first 2 shown]
	v_cndmask_b32_e64 v16, v16, v54, s0
	v_mad_u64_u32 v[38:39], null, s2, v56, 0
	v_mad_u64_u32 v[40:41], null, s2, v57, 0
	v_lshlrev_b32_e32 v28, 3, v16
	v_mad_u64_u32 v[42:43], null, s2, v58, 0
	v_add_nc_u32_e32 v60, 0x4ea, v55
	v_add_nc_u32_e32 v61, 0x5c7, v55
	v_lshlrev_b64 v[16:17], 3, v[28:29]
	v_add_nc_u32_e32 v62, 0x6a4, v55
	v_add_nc_u32_e32 v63, 0x781, v55
	v_mad_u64_u32 v[44:45], null, s2, v59, 0
	v_mad_u64_u32 v[46:47], null, s2, v60, 0
	v_add_co_u32 v16, vcc_lo, s8, v16
	v_add_co_ci_u32_e32 v17, vcc_lo, s9, v17, vcc_lo
	v_mad_u64_u32 v[48:49], null, s2, v61, 0
	s_clause 0x3
	global_load_dwordx4 v[20:23], v[16:17], off offset:1632
	global_load_dwordx4 v[24:27], v[16:17], off offset:1648
	;; [unrolled: 1-line block ×4, first 2 shown]
	v_mad_u64_u32 v[16:17], null, s2, v54, 0
	v_mad_u64_u32 v[50:51], null, s2, v62, 0
	;; [unrolled: 1-line block ×7, first 2 shown]
	v_mov_b32_e32 v17, v54
	v_mad_u64_u32 v[58:59], null, s3, v59, v[45:46]
	v_mov_b32_e32 v39, v55
	v_mov_b32_e32 v41, v56
	v_lshlrev_b64 v[16:17], 3, v[16:17]
	v_mad_u64_u32 v[59:60], null, s3, v60, v[47:48]
	v_lshlrev_b64 v[38:39], 3, v[38:39]
	v_mov_b32_e32 v43, v57
	v_mad_u64_u32 v[60:61], null, s3, v61, v[49:50]
	v_lshlrev_b64 v[40:41], 3, v[40:41]
	v_add_co_u32 v16, vcc_lo, v4, v16
	v_mov_b32_e32 v45, v58
	v_mad_u64_u32 v[61:62], null, s3, v62, v[51:52]
	v_add_co_ci_u32_e32 v17, vcc_lo, v5, v17, vcc_lo
	v_lshlrev_b64 v[42:43], 3, v[42:43]
	v_add_co_u32 v38, vcc_lo, v4, v38
	v_mov_b32_e32 v47, v59
	v_mad_u64_u32 v[62:63], null, s3, v63, v[53:54]
	v_add_co_ci_u32_e32 v39, vcc_lo, v5, v39, vcc_lo
	v_lshlrev_b64 v[44:45], 3, v[44:45]
	v_add_co_u32 v40, vcc_lo, v4, v40
	v_mov_b32_e32 v49, v60
	v_add_co_ci_u32_e32 v41, vcc_lo, v5, v41, vcc_lo
	v_lshlrev_b64 v[46:47], 3, v[46:47]
	v_add_co_u32 v42, vcc_lo, v4, v42
	v_mov_b32_e32 v51, v61
	;; [unrolled: 4-line block ×3, first 2 shown]
	v_add_co_ci_u32_e32 v45, vcc_lo, v5, v45, vcc_lo
	v_lshlrev_b64 v[50:51], 3, v[50:51]
	v_add_co_u32 v46, vcc_lo, v4, v46
	v_add_co_ci_u32_e32 v47, vcc_lo, v5, v47, vcc_lo
	v_lshlrev_b64 v[52:53], 3, v[52:53]
	v_add_co_u32 v48, vcc_lo, v4, v48
	v_add_co_ci_u32_e32 v49, vcc_lo, v5, v49, vcc_lo
	v_add_co_u32 v50, vcc_lo, v4, v50
	v_add_co_ci_u32_e32 v51, vcc_lo, v5, v51, vcc_lo
	v_add_co_u32 v4, vcc_lo, v4, v52
	v_add_co_ci_u32_e32 v5, vcc_lo, v5, v53, vcc_lo
	s_waitcnt vmcnt(3)
	v_mul_f32_e32 v52, v15, v21
	v_mul_f32_e32 v21, v11, v21
	;; [unrolled: 1-line block ×4, first 2 shown]
	s_waitcnt vmcnt(2)
	v_mul_f32_e32 v55, v8, v27
	v_mul_f32_e32 v27, v2, v27
	s_waitcnt vmcnt(1)
	v_mul_f32_e32 v56, v9, v29
	v_mul_f32_e32 v29, v3, v29
	;; [unrolled: 1-line block ×3, first 2 shown]
	s_waitcnt vmcnt(0)
	v_mul_f32_e32 v58, v7, v33
	v_mul_f32_e32 v33, v1, v33
	;; [unrolled: 1-line block ×7, first 2 shown]
	v_fmac_f32_e32 v52, v11, v20
	v_fma_f32 v11, v15, v20, -v21
	v_fmac_f32_e32 v53, v12, v22
	v_fma_f32 v12, v18, v22, -v23
	;; [unrolled: 2-line block ×4, first 2 shown]
	v_fmac_f32_e32 v57, v0, v30
	v_fmac_f32_e32 v59, v36, v34
	v_fma_f32 v0, v37, v34, -v35
	v_fmac_f32_e32 v58, v1, v32
	v_fma_f32 v1, v7, v32, -v33
	v_fmac_f32_e32 v54, v13, v24
	v_fma_f32 v13, v19, v24, -v25
	v_fma_f32 v6, v6, v30, -v31
	v_add_f32_e32 v15, v52, v59
	v_add_f32_e32 v18, v11, v0
	;; [unrolled: 1-line block ×4, first 2 shown]
	v_sub_f32_e32 v11, v11, v0
	v_sub_f32_e32 v23, v2, v3
	v_add_f32_e32 v9, v54, v57
	v_add_f32_e32 v19, v13, v6
	v_sub_f32_e32 v21, v53, v58
	v_sub_f32_e32 v12, v12, v1
	v_add_f32_e32 v24, v55, v56
	v_add_f32_e32 v25, v2, v3
	v_mul_f32_e32 v27, 0x3f248dbb, v11
	v_mul_f32_e32 v31, 0xbf248dbb, v23
	v_add_f32_e32 v36, v7, v15
	v_add_f32_e32 v37, v8, v18
	v_mul_f32_e32 v53, 0x3f7c1c5c, v23
	v_sub_f32_e32 v22, v54, v57
	v_sub_f32_e32 v6, v13, v6
	v_fmac_f32_e32 v27, 0x3f7c1c5c, v12
	v_fmac_f32_e32 v31, 0x3f7c1c5c, v11
	v_add_f32_e32 v54, v24, v36
	v_add_f32_e32 v57, v25, v37
	v_fma_f32 v53, 0xbf248dbb, v12, -v53
	v_add_f32_e32 v36, v9, v36
	v_add_f32_e32 v37, v19, v37
	v_fmac_f32_e32 v27, 0x3f5db3d7, v6
	v_fmac_f32_e32 v31, 0xbf5db3d7, v6
	;; [unrolled: 1-line block ×3, first 2 shown]
	v_add_f32_e32 v6, v55, v36
	v_add_f32_e32 v2, v2, v37
	v_sub_f32_e32 v13, v55, v56
	v_sub_f32_e32 v20, v52, v59
	v_fmamk_f32 v28, v15, 0x3f441b7d, v10
	v_add_f32_e32 v6, v56, v6
	v_add_f32_e32 v3, v3, v2
	v_fmamk_f32 v29, v18, 0x3f441b7d, v14
	v_fmamk_f32 v32, v24, 0x3f441b7d, v10
	;; [unrolled: 1-line block ×3, first 2 shown]
	v_add_f32_e32 v0, v10, v9
	v_add_f32_e32 v1, v14, v19
	v_mul_f32_e32 v52, 0x3f7c1c5c, v13
	v_add_f32_e32 v2, v10, v6
	v_add_f32_e32 v3, v14, v3
	v_fmac_f32_e32 v10, 0x3f441b7d, v7
	v_fmac_f32_e32 v14, 0x3f441b7d, v8
	v_mul_f32_e32 v26, 0x3f248dbb, v20
	v_mul_f32_e32 v30, 0xbf248dbb, v13
	v_fma_f32 v52, 0xbf248dbb, v21, -v52
	v_fmac_f32_e32 v10, 0x3e31d0d4, v24
	v_fmac_f32_e32 v14, 0x3e31d0d4, v25
	;; [unrolled: 1-line block ×9, first 2 shown]
	v_fmac_f32_e32 v10, -0.5, v9
	v_fmac_f32_e32 v14, -0.5, v19
	v_add_f32_e32 v34, v13, v20
	v_add_f32_e32 v35, v23, v11
	v_fmac_f32_e32 v26, 0x3f5db3d7, v22
	v_fmac_f32_e32 v28, -0.5, v9
	v_fmac_f32_e32 v29, -0.5, v19
	v_fmac_f32_e32 v30, 0xbf5db3d7, v22
	v_fmac_f32_e32 v32, -0.5, v9
	v_fmac_f32_e32 v33, -0.5, v19
	v_fmac_f32_e32 v52, 0x3eaf1d44, v20
	v_fmac_f32_e32 v53, 0x3eaf1d44, v11
	;; [unrolled: 1-line block ×4, first 2 shown]
	v_sub_f32_e32 v34, v34, v21
	v_sub_f32_e32 v35, v35, v12
	v_fmac_f32_e32 v0, -0.5, v54
	v_fmac_f32_e32 v1, -0.5, v57
	v_fmac_f32_e32 v26, 0x3eaf1d44, v13
	v_fmac_f32_e32 v27, 0x3eaf1d44, v23
	;; [unrolled: 1-line block ×8, first 2 shown]
	v_sub_f32_e32 v13, v10, v53
	v_add_f32_e32 v14, v52, v14
	v_mul_f32_e32 v58, 0x3f5db3d7, v34
	v_mul_f32_e32 v59, 0x3f5db3d7, v35
	v_fmac_f32_e32 v0, 0xbf5db3d7, v35
	v_fmac_f32_e32 v1, 0x3f5db3d7, v34
	v_sub_f32_e32 v6, v28, v27
	v_add_f32_e32 v7, v26, v29
	v_sub_f32_e32 v8, v32, v31
	v_add_f32_e32 v9, v30, v33
	global_store_dwordx2 v[16:17], v[2:3], off
	v_fma_f32 v2, 2.0, v53, v13
	v_fma_f32 v3, -2.0, v52, v14
	v_fma_f32 v11, 2.0, v59, v0
	v_fma_f32 v12, -2.0, v58, v1
	;; [unrolled: 2-line block ×4, first 2 shown]
	global_store_dwordx2 v[38:39], v[6:7], off
	global_store_dwordx2 v[40:41], v[8:9], off
	global_store_dwordx2 v[42:43], v[0:1], off
	global_store_dwordx2 v[44:45], v[13:14], off
	global_store_dwordx2 v[46:47], v[2:3], off
	global_store_dwordx2 v[48:49], v[11:12], off
	global_store_dwordx2 v[50:51], v[20:21], off
	global_store_dwordx2 v[4:5], v[18:19], off
.LBB0_22:
	s_endpgm
	.section	.rodata,"a",@progbits
	.p2align	6, 0x0
	.amdhsa_kernel fft_rtc_back_len1989_factors_17_13_9_wgs_153_tpt_153_halfLds_sp_ip_CI_sbrr_dirReg
		.amdhsa_group_segment_fixed_size 0
		.amdhsa_private_segment_fixed_size 0
		.amdhsa_kernarg_size 88
		.amdhsa_user_sgpr_count 6
		.amdhsa_user_sgpr_private_segment_buffer 1
		.amdhsa_user_sgpr_dispatch_ptr 0
		.amdhsa_user_sgpr_queue_ptr 0
		.amdhsa_user_sgpr_kernarg_segment_ptr 1
		.amdhsa_user_sgpr_dispatch_id 0
		.amdhsa_user_sgpr_flat_scratch_init 0
		.amdhsa_user_sgpr_private_segment_size 0
		.amdhsa_wavefront_size32 1
		.amdhsa_uses_dynamic_stack 0
		.amdhsa_system_sgpr_private_segment_wavefront_offset 0
		.amdhsa_system_sgpr_workgroup_id_x 1
		.amdhsa_system_sgpr_workgroup_id_y 0
		.amdhsa_system_sgpr_workgroup_id_z 0
		.amdhsa_system_sgpr_workgroup_info 0
		.amdhsa_system_vgpr_workitem_id 0
		.amdhsa_next_free_vgpr 122
		.amdhsa_next_free_sgpr 23
		.amdhsa_reserve_vcc 1
		.amdhsa_reserve_flat_scratch 0
		.amdhsa_float_round_mode_32 0
		.amdhsa_float_round_mode_16_64 0
		.amdhsa_float_denorm_mode_32 3
		.amdhsa_float_denorm_mode_16_64 3
		.amdhsa_dx10_clamp 1
		.amdhsa_ieee_mode 1
		.amdhsa_fp16_overflow 0
		.amdhsa_workgroup_processor_mode 1
		.amdhsa_memory_ordered 1
		.amdhsa_forward_progress 0
		.amdhsa_shared_vgpr_count 0
		.amdhsa_exception_fp_ieee_invalid_op 0
		.amdhsa_exception_fp_denorm_src 0
		.amdhsa_exception_fp_ieee_div_zero 0
		.amdhsa_exception_fp_ieee_overflow 0
		.amdhsa_exception_fp_ieee_underflow 0
		.amdhsa_exception_fp_ieee_inexact 0
		.amdhsa_exception_int_div_zero 0
	.end_amdhsa_kernel
	.text
.Lfunc_end0:
	.size	fft_rtc_back_len1989_factors_17_13_9_wgs_153_tpt_153_halfLds_sp_ip_CI_sbrr_dirReg, .Lfunc_end0-fft_rtc_back_len1989_factors_17_13_9_wgs_153_tpt_153_halfLds_sp_ip_CI_sbrr_dirReg
                                        ; -- End function
	.section	.AMDGPU.csdata,"",@progbits
; Kernel info:
; codeLenInByte = 13872
; NumSgprs: 25
; NumVgprs: 122
; ScratchSize: 0
; MemoryBound: 0
; FloatMode: 240
; IeeeMode: 1
; LDSByteSize: 0 bytes/workgroup (compile time only)
; SGPRBlocks: 3
; VGPRBlocks: 15
; NumSGPRsForWavesPerEU: 25
; NumVGPRsForWavesPerEU: 122
; Occupancy: 8
; WaveLimiterHint : 1
; COMPUTE_PGM_RSRC2:SCRATCH_EN: 0
; COMPUTE_PGM_RSRC2:USER_SGPR: 6
; COMPUTE_PGM_RSRC2:TRAP_HANDLER: 0
; COMPUTE_PGM_RSRC2:TGID_X_EN: 1
; COMPUTE_PGM_RSRC2:TGID_Y_EN: 0
; COMPUTE_PGM_RSRC2:TGID_Z_EN: 0
; COMPUTE_PGM_RSRC2:TIDIG_COMP_CNT: 0
	.text
	.p2alignl 6, 3214868480
	.fill 48, 4, 3214868480
	.type	__hip_cuid_d686ef0a796dc30e,@object ; @__hip_cuid_d686ef0a796dc30e
	.section	.bss,"aw",@nobits
	.globl	__hip_cuid_d686ef0a796dc30e
__hip_cuid_d686ef0a796dc30e:
	.byte	0                               ; 0x0
	.size	__hip_cuid_d686ef0a796dc30e, 1

	.ident	"AMD clang version 19.0.0git (https://github.com/RadeonOpenCompute/llvm-project roc-6.4.0 25133 c7fe45cf4b819c5991fe208aaa96edf142730f1d)"
	.section	".note.GNU-stack","",@progbits
	.addrsig
	.addrsig_sym __hip_cuid_d686ef0a796dc30e
	.amdgpu_metadata
---
amdhsa.kernels:
  - .args:
      - .actual_access:  read_only
        .address_space:  global
        .offset:         0
        .size:           8
        .value_kind:     global_buffer
      - .offset:         8
        .size:           8
        .value_kind:     by_value
      - .actual_access:  read_only
        .address_space:  global
        .offset:         16
        .size:           8
        .value_kind:     global_buffer
      - .actual_access:  read_only
        .address_space:  global
        .offset:         24
        .size:           8
        .value_kind:     global_buffer
      - .offset:         32
        .size:           8
        .value_kind:     by_value
      - .actual_access:  read_only
        .address_space:  global
        .offset:         40
        .size:           8
        .value_kind:     global_buffer
      - .actual_access:  read_only
        .address_space:  global
        .offset:         48
        .size:           8
        .value_kind:     global_buffer
      - .offset:         56
        .size:           4
        .value_kind:     by_value
      - .actual_access:  read_only
        .address_space:  global
        .offset:         64
        .size:           8
        .value_kind:     global_buffer
      - .actual_access:  read_only
        .address_space:  global
        .offset:         72
        .size:           8
        .value_kind:     global_buffer
      - .address_space:  global
        .offset:         80
        .size:           8
        .value_kind:     global_buffer
    .group_segment_fixed_size: 0
    .kernarg_segment_align: 8
    .kernarg_segment_size: 88
    .language:       OpenCL C
    .language_version:
      - 2
      - 0
    .max_flat_workgroup_size: 153
    .name:           fft_rtc_back_len1989_factors_17_13_9_wgs_153_tpt_153_halfLds_sp_ip_CI_sbrr_dirReg
    .private_segment_fixed_size: 0
    .sgpr_count:     25
    .sgpr_spill_count: 0
    .symbol:         fft_rtc_back_len1989_factors_17_13_9_wgs_153_tpt_153_halfLds_sp_ip_CI_sbrr_dirReg.kd
    .uniform_work_group_size: 1
    .uses_dynamic_stack: false
    .vgpr_count:     122
    .vgpr_spill_count: 0
    .wavefront_size: 32
    .workgroup_processor_mode: 1
amdhsa.target:   amdgcn-amd-amdhsa--gfx1030
amdhsa.version:
  - 1
  - 2
...

	.end_amdgpu_metadata
